;; amdgpu-corpus repo=ROCm/hipCUB kind=compiled arch=gfx1250 opt=O3
	.amdgcn_target "amdgcn-amd-amdhsa--gfx1250"
	.amdhsa_code_object_version 6
	.section	.text._Z21shuffle_offset_kernelILj32E12hip_bfloat16EvPT0_S2_i,"axG",@progbits,_Z21shuffle_offset_kernelILj32E12hip_bfloat16EvPT0_S2_i,comdat
	.protected	_Z21shuffle_offset_kernelILj32E12hip_bfloat16EvPT0_S2_i ; -- Begin function _Z21shuffle_offset_kernelILj32E12hip_bfloat16EvPT0_S2_i
	.globl	_Z21shuffle_offset_kernelILj32E12hip_bfloat16EvPT0_S2_i
	.p2align	8
	.type	_Z21shuffle_offset_kernelILj32E12hip_bfloat16EvPT0_S2_i,@function
_Z21shuffle_offset_kernelILj32E12hip_bfloat16EvPT0_S2_i: ; @_Z21shuffle_offset_kernelILj32E12hip_bfloat16EvPT0_S2_i
; %bb.0:
	s_load_b128 s[4:7], s[0:1], 0x0
	s_bfe_u32 s2, ttmp6, 0x4000c
	s_and_b32 s3, ttmp6, 15
	s_add_co_i32 s2, s2, 1
	s_getreg_b32 s8, hwreg(HW_REG_IB_STS2, 6, 4)
	s_mul_i32 s2, ttmp9, s2
	s_wait_xcnt 0x0
	s_load_b32 s0, s[0:1], 0x10
	s_add_co_i32 s3, s3, s2
	s_cmp_eq_u32 s8, 0
	s_wait_xcnt 0x0
	s_mov_b32 s1, exec_lo
	s_cselect_b32 s2, ttmp9, s3
	s_delay_alu instid0(SALU_CYCLE_1)
	v_lshl_or_b32 v2, s2, 5, v0
	s_wait_kmcnt 0x0
	global_load_u16 v1, v2, s[4:5] scale_offset
	v_dual_add_nc_u32 v3, s0, v0 :: v_dual_lshlrev_b32 v0, 1, v0
	s_wait_loadcnt 0x0
	ds_store_b16 v0, v1
	s_wait_dscnt 0x0
	; wave barrier
	v_cmpx_gt_u32_e32 32, v3
	s_cbranch_execz .LBB0_2
; %bb.1:
	v_lshl_add_u32 v0, s0, 1, v0
	v_mov_b32_e32 v3, 0
	ds_load_u16 v4, v0
	v_lshl_add_u64 v[0:1], v[2:3], 1, s[6:7]
	s_wait_dscnt 0x0
	global_store_b16 v[0:1], v4, off
.LBB0_2:
	s_endpgm
	.section	.rodata,"a",@progbits
	.p2align	6, 0x0
	.amdhsa_kernel _Z21shuffle_offset_kernelILj32E12hip_bfloat16EvPT0_S2_i
		.amdhsa_group_segment_fixed_size 64
		.amdhsa_private_segment_fixed_size 0
		.amdhsa_kernarg_size 20
		.amdhsa_user_sgpr_count 2
		.amdhsa_user_sgpr_dispatch_ptr 0
		.amdhsa_user_sgpr_queue_ptr 0
		.amdhsa_user_sgpr_kernarg_segment_ptr 1
		.amdhsa_user_sgpr_dispatch_id 0
		.amdhsa_user_sgpr_kernarg_preload_length 0
		.amdhsa_user_sgpr_kernarg_preload_offset 0
		.amdhsa_user_sgpr_private_segment_size 0
		.amdhsa_wavefront_size32 1
		.amdhsa_uses_dynamic_stack 0
		.amdhsa_enable_private_segment 0
		.amdhsa_system_sgpr_workgroup_id_x 1
		.amdhsa_system_sgpr_workgroup_id_y 0
		.amdhsa_system_sgpr_workgroup_id_z 0
		.amdhsa_system_sgpr_workgroup_info 0
		.amdhsa_system_vgpr_workitem_id 0
		.amdhsa_next_free_vgpr 5
		.amdhsa_next_free_sgpr 9
		.amdhsa_named_barrier_count 0
		.amdhsa_reserve_vcc 0
		.amdhsa_float_round_mode_32 0
		.amdhsa_float_round_mode_16_64 0
		.amdhsa_float_denorm_mode_32 3
		.amdhsa_float_denorm_mode_16_64 3
		.amdhsa_fp16_overflow 0
		.amdhsa_memory_ordered 1
		.amdhsa_forward_progress 1
		.amdhsa_inst_pref_size 2
		.amdhsa_round_robin_scheduling 0
		.amdhsa_exception_fp_ieee_invalid_op 0
		.amdhsa_exception_fp_denorm_src 0
		.amdhsa_exception_fp_ieee_div_zero 0
		.amdhsa_exception_fp_ieee_overflow 0
		.amdhsa_exception_fp_ieee_underflow 0
		.amdhsa_exception_fp_ieee_inexact 0
		.amdhsa_exception_int_div_zero 0
	.end_amdhsa_kernel
	.section	.text._Z21shuffle_offset_kernelILj32E12hip_bfloat16EvPT0_S2_i,"axG",@progbits,_Z21shuffle_offset_kernelILj32E12hip_bfloat16EvPT0_S2_i,comdat
.Lfunc_end0:
	.size	_Z21shuffle_offset_kernelILj32E12hip_bfloat16EvPT0_S2_i, .Lfunc_end0-_Z21shuffle_offset_kernelILj32E12hip_bfloat16EvPT0_S2_i
                                        ; -- End function
	.set _Z21shuffle_offset_kernelILj32E12hip_bfloat16EvPT0_S2_i.num_vgpr, 5
	.set _Z21shuffle_offset_kernelILj32E12hip_bfloat16EvPT0_S2_i.num_agpr, 0
	.set _Z21shuffle_offset_kernelILj32E12hip_bfloat16EvPT0_S2_i.numbered_sgpr, 9
	.set _Z21shuffle_offset_kernelILj32E12hip_bfloat16EvPT0_S2_i.num_named_barrier, 0
	.set _Z21shuffle_offset_kernelILj32E12hip_bfloat16EvPT0_S2_i.private_seg_size, 0
	.set _Z21shuffle_offset_kernelILj32E12hip_bfloat16EvPT0_S2_i.uses_vcc, 0
	.set _Z21shuffle_offset_kernelILj32E12hip_bfloat16EvPT0_S2_i.uses_flat_scratch, 0
	.set _Z21shuffle_offset_kernelILj32E12hip_bfloat16EvPT0_S2_i.has_dyn_sized_stack, 0
	.set _Z21shuffle_offset_kernelILj32E12hip_bfloat16EvPT0_S2_i.has_recursion, 0
	.set _Z21shuffle_offset_kernelILj32E12hip_bfloat16EvPT0_S2_i.has_indirect_call, 0
	.section	.AMDGPU.csdata,"",@progbits
; Kernel info:
; codeLenInByte = 176
; TotalNumSgprs: 9
; NumVgprs: 5
; ScratchSize: 0
; MemoryBound: 0
; FloatMode: 240
; IeeeMode: 1
; LDSByteSize: 64 bytes/workgroup (compile time only)
; SGPRBlocks: 0
; VGPRBlocks: 0
; NumSGPRsForWavesPerEU: 9
; NumVGPRsForWavesPerEU: 5
; NamedBarCnt: 0
; Occupancy: 16
; WaveLimiterHint : 0
; COMPUTE_PGM_RSRC2:SCRATCH_EN: 0
; COMPUTE_PGM_RSRC2:USER_SGPR: 2
; COMPUTE_PGM_RSRC2:TRAP_HANDLER: 0
; COMPUTE_PGM_RSRC2:TGID_X_EN: 1
; COMPUTE_PGM_RSRC2:TGID_Y_EN: 0
; COMPUTE_PGM_RSRC2:TGID_Z_EN: 0
; COMPUTE_PGM_RSRC2:TIDIG_COMP_CNT: 0
	.section	.text._Z21shuffle_offset_kernelILj32E6__halfEvPT0_S2_i,"axG",@progbits,_Z21shuffle_offset_kernelILj32E6__halfEvPT0_S2_i,comdat
	.protected	_Z21shuffle_offset_kernelILj32E6__halfEvPT0_S2_i ; -- Begin function _Z21shuffle_offset_kernelILj32E6__halfEvPT0_S2_i
	.globl	_Z21shuffle_offset_kernelILj32E6__halfEvPT0_S2_i
	.p2align	8
	.type	_Z21shuffle_offset_kernelILj32E6__halfEvPT0_S2_i,@function
_Z21shuffle_offset_kernelILj32E6__halfEvPT0_S2_i: ; @_Z21shuffle_offset_kernelILj32E6__halfEvPT0_S2_i
; %bb.0:
	s_load_b128 s[4:7], s[0:1], 0x0
	s_bfe_u32 s2, ttmp6, 0x4000c
	s_and_b32 s3, ttmp6, 15
	s_add_co_i32 s2, s2, 1
	s_getreg_b32 s8, hwreg(HW_REG_IB_STS2, 6, 4)
	s_mul_i32 s2, ttmp9, s2
	s_wait_xcnt 0x0
	s_load_b32 s0, s[0:1], 0x10
	s_add_co_i32 s3, s3, s2
	s_cmp_eq_u32 s8, 0
	s_wait_xcnt 0x0
	s_mov_b32 s1, exec_lo
	s_cselect_b32 s2, ttmp9, s3
	s_delay_alu instid0(SALU_CYCLE_1)
	v_lshl_or_b32 v2, s2, 5, v0
	s_wait_kmcnt 0x0
	global_load_u16 v1, v2, s[4:5] scale_offset
	v_dual_add_nc_u32 v3, s0, v0 :: v_dual_lshlrev_b32 v0, 1, v0
	s_wait_loadcnt 0x0
	ds_store_b16 v0, v1
	s_wait_dscnt 0x0
	; wave barrier
	v_cmpx_gt_u32_e32 32, v3
	s_cbranch_execz .LBB1_2
; %bb.1:
	v_lshl_add_u32 v0, s0, 1, v0
	v_mov_b32_e32 v3, 0
	ds_load_u16 v4, v0
	v_lshl_add_u64 v[0:1], v[2:3], 1, s[6:7]
	s_wait_dscnt 0x0
	global_store_b16 v[0:1], v4, off
.LBB1_2:
	s_endpgm
	.section	.rodata,"a",@progbits
	.p2align	6, 0x0
	.amdhsa_kernel _Z21shuffle_offset_kernelILj32E6__halfEvPT0_S2_i
		.amdhsa_group_segment_fixed_size 64
		.amdhsa_private_segment_fixed_size 0
		.amdhsa_kernarg_size 20
		.amdhsa_user_sgpr_count 2
		.amdhsa_user_sgpr_dispatch_ptr 0
		.amdhsa_user_sgpr_queue_ptr 0
		.amdhsa_user_sgpr_kernarg_segment_ptr 1
		.amdhsa_user_sgpr_dispatch_id 0
		.amdhsa_user_sgpr_kernarg_preload_length 0
		.amdhsa_user_sgpr_kernarg_preload_offset 0
		.amdhsa_user_sgpr_private_segment_size 0
		.amdhsa_wavefront_size32 1
		.amdhsa_uses_dynamic_stack 0
		.amdhsa_enable_private_segment 0
		.amdhsa_system_sgpr_workgroup_id_x 1
		.amdhsa_system_sgpr_workgroup_id_y 0
		.amdhsa_system_sgpr_workgroup_id_z 0
		.amdhsa_system_sgpr_workgroup_info 0
		.amdhsa_system_vgpr_workitem_id 0
		.amdhsa_next_free_vgpr 5
		.amdhsa_next_free_sgpr 9
		.amdhsa_named_barrier_count 0
		.amdhsa_reserve_vcc 0
		.amdhsa_float_round_mode_32 0
		.amdhsa_float_round_mode_16_64 0
		.amdhsa_float_denorm_mode_32 3
		.amdhsa_float_denorm_mode_16_64 3
		.amdhsa_fp16_overflow 0
		.amdhsa_memory_ordered 1
		.amdhsa_forward_progress 1
		.amdhsa_inst_pref_size 2
		.amdhsa_round_robin_scheduling 0
		.amdhsa_exception_fp_ieee_invalid_op 0
		.amdhsa_exception_fp_denorm_src 0
		.amdhsa_exception_fp_ieee_div_zero 0
		.amdhsa_exception_fp_ieee_overflow 0
		.amdhsa_exception_fp_ieee_underflow 0
		.amdhsa_exception_fp_ieee_inexact 0
		.amdhsa_exception_int_div_zero 0
	.end_amdhsa_kernel
	.section	.text._Z21shuffle_offset_kernelILj32E6__halfEvPT0_S2_i,"axG",@progbits,_Z21shuffle_offset_kernelILj32E6__halfEvPT0_S2_i,comdat
.Lfunc_end1:
	.size	_Z21shuffle_offset_kernelILj32E6__halfEvPT0_S2_i, .Lfunc_end1-_Z21shuffle_offset_kernelILj32E6__halfEvPT0_S2_i
                                        ; -- End function
	.set _Z21shuffle_offset_kernelILj32E6__halfEvPT0_S2_i.num_vgpr, 5
	.set _Z21shuffle_offset_kernelILj32E6__halfEvPT0_S2_i.num_agpr, 0
	.set _Z21shuffle_offset_kernelILj32E6__halfEvPT0_S2_i.numbered_sgpr, 9
	.set _Z21shuffle_offset_kernelILj32E6__halfEvPT0_S2_i.num_named_barrier, 0
	.set _Z21shuffle_offset_kernelILj32E6__halfEvPT0_S2_i.private_seg_size, 0
	.set _Z21shuffle_offset_kernelILj32E6__halfEvPT0_S2_i.uses_vcc, 0
	.set _Z21shuffle_offset_kernelILj32E6__halfEvPT0_S2_i.uses_flat_scratch, 0
	.set _Z21shuffle_offset_kernelILj32E6__halfEvPT0_S2_i.has_dyn_sized_stack, 0
	.set _Z21shuffle_offset_kernelILj32E6__halfEvPT0_S2_i.has_recursion, 0
	.set _Z21shuffle_offset_kernelILj32E6__halfEvPT0_S2_i.has_indirect_call, 0
	.section	.AMDGPU.csdata,"",@progbits
; Kernel info:
; codeLenInByte = 176
; TotalNumSgprs: 9
; NumVgprs: 5
; ScratchSize: 0
; MemoryBound: 0
; FloatMode: 240
; IeeeMode: 1
; LDSByteSize: 64 bytes/workgroup (compile time only)
; SGPRBlocks: 0
; VGPRBlocks: 0
; NumSGPRsForWavesPerEU: 9
; NumVGPRsForWavesPerEU: 5
; NamedBarCnt: 0
; Occupancy: 16
; WaveLimiterHint : 0
; COMPUTE_PGM_RSRC2:SCRATCH_EN: 0
; COMPUTE_PGM_RSRC2:USER_SGPR: 2
; COMPUTE_PGM_RSRC2:TRAP_HANDLER: 0
; COMPUTE_PGM_RSRC2:TGID_X_EN: 1
; COMPUTE_PGM_RSRC2:TGID_Y_EN: 0
; COMPUTE_PGM_RSRC2:TGID_Z_EN: 0
; COMPUTE_PGM_RSRC2:TIDIG_COMP_CNT: 0
	.section	.text._Z21shuffle_offset_kernelILj32EfEvPT0_S1_i,"axG",@progbits,_Z21shuffle_offset_kernelILj32EfEvPT0_S1_i,comdat
	.protected	_Z21shuffle_offset_kernelILj32EfEvPT0_S1_i ; -- Begin function _Z21shuffle_offset_kernelILj32EfEvPT0_S1_i
	.globl	_Z21shuffle_offset_kernelILj32EfEvPT0_S1_i
	.p2align	8
	.type	_Z21shuffle_offset_kernelILj32EfEvPT0_S1_i,@function
_Z21shuffle_offset_kernelILj32EfEvPT0_S1_i: ; @_Z21shuffle_offset_kernelILj32EfEvPT0_S1_i
; %bb.0:
	s_load_b128 s[4:7], s[0:1], 0x0
	s_bfe_u32 s2, ttmp6, 0x4000c
	s_and_b32 s3, ttmp6, 15
	s_add_co_i32 s2, s2, 1
	s_getreg_b32 s8, hwreg(HW_REG_IB_STS2, 6, 4)
	s_mul_i32 s2, ttmp9, s2
	s_wait_xcnt 0x0
	s_load_b32 s0, s[0:1], 0x10
	s_add_co_i32 s3, s3, s2
	s_cmp_eq_u32 s8, 0
	s_wait_xcnt 0x0
	s_mov_b32 s1, exec_lo
	s_cselect_b32 s2, ttmp9, s3
	s_delay_alu instid0(SALU_CYCLE_1)
	v_lshl_or_b32 v2, s2, 5, v0
	s_wait_kmcnt 0x0
	global_load_b32 v1, v2, s[4:5] scale_offset
	v_dual_add_nc_u32 v3, s0, v0 :: v_dual_lshlrev_b32 v0, 2, v0
	s_wait_loadcnt 0x0
	ds_store_b32 v0, v1
	s_wait_dscnt 0x0
	; wave barrier
	v_cmpx_gt_u32_e32 32, v3
	s_cbranch_execz .LBB2_2
; %bb.1:
	v_lshl_add_u32 v0, s0, 2, v0
	v_mov_b32_e32 v3, 0
	ds_load_b32 v4, v0
	v_lshl_add_u64 v[0:1], v[2:3], 2, s[6:7]
	s_wait_dscnt 0x0
	global_store_b32 v[0:1], v4, off
.LBB2_2:
	s_endpgm
	.section	.rodata,"a",@progbits
	.p2align	6, 0x0
	.amdhsa_kernel _Z21shuffle_offset_kernelILj32EfEvPT0_S1_i
		.amdhsa_group_segment_fixed_size 128
		.amdhsa_private_segment_fixed_size 0
		.amdhsa_kernarg_size 20
		.amdhsa_user_sgpr_count 2
		.amdhsa_user_sgpr_dispatch_ptr 0
		.amdhsa_user_sgpr_queue_ptr 0
		.amdhsa_user_sgpr_kernarg_segment_ptr 1
		.amdhsa_user_sgpr_dispatch_id 0
		.amdhsa_user_sgpr_kernarg_preload_length 0
		.amdhsa_user_sgpr_kernarg_preload_offset 0
		.amdhsa_user_sgpr_private_segment_size 0
		.amdhsa_wavefront_size32 1
		.amdhsa_uses_dynamic_stack 0
		.amdhsa_enable_private_segment 0
		.amdhsa_system_sgpr_workgroup_id_x 1
		.amdhsa_system_sgpr_workgroup_id_y 0
		.amdhsa_system_sgpr_workgroup_id_z 0
		.amdhsa_system_sgpr_workgroup_info 0
		.amdhsa_system_vgpr_workitem_id 0
		.amdhsa_next_free_vgpr 5
		.amdhsa_next_free_sgpr 9
		.amdhsa_named_barrier_count 0
		.amdhsa_reserve_vcc 0
		.amdhsa_float_round_mode_32 0
		.amdhsa_float_round_mode_16_64 0
		.amdhsa_float_denorm_mode_32 3
		.amdhsa_float_denorm_mode_16_64 3
		.amdhsa_fp16_overflow 0
		.amdhsa_memory_ordered 1
		.amdhsa_forward_progress 1
		.amdhsa_inst_pref_size 2
		.amdhsa_round_robin_scheduling 0
		.amdhsa_exception_fp_ieee_invalid_op 0
		.amdhsa_exception_fp_denorm_src 0
		.amdhsa_exception_fp_ieee_div_zero 0
		.amdhsa_exception_fp_ieee_overflow 0
		.amdhsa_exception_fp_ieee_underflow 0
		.amdhsa_exception_fp_ieee_inexact 0
		.amdhsa_exception_int_div_zero 0
	.end_amdhsa_kernel
	.section	.text._Z21shuffle_offset_kernelILj32EfEvPT0_S1_i,"axG",@progbits,_Z21shuffle_offset_kernelILj32EfEvPT0_S1_i,comdat
.Lfunc_end2:
	.size	_Z21shuffle_offset_kernelILj32EfEvPT0_S1_i, .Lfunc_end2-_Z21shuffle_offset_kernelILj32EfEvPT0_S1_i
                                        ; -- End function
	.set _Z21shuffle_offset_kernelILj32EfEvPT0_S1_i.num_vgpr, 5
	.set _Z21shuffle_offset_kernelILj32EfEvPT0_S1_i.num_agpr, 0
	.set _Z21shuffle_offset_kernelILj32EfEvPT0_S1_i.numbered_sgpr, 9
	.set _Z21shuffle_offset_kernelILj32EfEvPT0_S1_i.num_named_barrier, 0
	.set _Z21shuffle_offset_kernelILj32EfEvPT0_S1_i.private_seg_size, 0
	.set _Z21shuffle_offset_kernelILj32EfEvPT0_S1_i.uses_vcc, 0
	.set _Z21shuffle_offset_kernelILj32EfEvPT0_S1_i.uses_flat_scratch, 0
	.set _Z21shuffle_offset_kernelILj32EfEvPT0_S1_i.has_dyn_sized_stack, 0
	.set _Z21shuffle_offset_kernelILj32EfEvPT0_S1_i.has_recursion, 0
	.set _Z21shuffle_offset_kernelILj32EfEvPT0_S1_i.has_indirect_call, 0
	.section	.AMDGPU.csdata,"",@progbits
; Kernel info:
; codeLenInByte = 176
; TotalNumSgprs: 9
; NumVgprs: 5
; ScratchSize: 0
; MemoryBound: 0
; FloatMode: 240
; IeeeMode: 1
; LDSByteSize: 128 bytes/workgroup (compile time only)
; SGPRBlocks: 0
; VGPRBlocks: 0
; NumSGPRsForWavesPerEU: 9
; NumVGPRsForWavesPerEU: 5
; NamedBarCnt: 0
; Occupancy: 16
; WaveLimiterHint : 0
; COMPUTE_PGM_RSRC2:SCRATCH_EN: 0
; COMPUTE_PGM_RSRC2:USER_SGPR: 2
; COMPUTE_PGM_RSRC2:TRAP_HANDLER: 0
; COMPUTE_PGM_RSRC2:TGID_X_EN: 1
; COMPUTE_PGM_RSRC2:TGID_Y_EN: 0
; COMPUTE_PGM_RSRC2:TGID_Z_EN: 0
; COMPUTE_PGM_RSRC2:TIDIG_COMP_CNT: 0
	.section	.text._Z21shuffle_offset_kernelILj377ElEvPT0_S1_i,"axG",@progbits,_Z21shuffle_offset_kernelILj377ElEvPT0_S1_i,comdat
	.protected	_Z21shuffle_offset_kernelILj377ElEvPT0_S1_i ; -- Begin function _Z21shuffle_offset_kernelILj377ElEvPT0_S1_i
	.globl	_Z21shuffle_offset_kernelILj377ElEvPT0_S1_i
	.p2align	8
	.type	_Z21shuffle_offset_kernelILj377ElEvPT0_S1_i,@function
_Z21shuffle_offset_kernelILj377ElEvPT0_S1_i: ; @_Z21shuffle_offset_kernelILj377ElEvPT0_S1_i
; %bb.0:
	s_bfe_u32 s2, ttmp6, 0x4000c
	s_load_b128 s[4:7], s[0:1], 0x0
	s_add_co_i32 s2, s2, 1
	s_and_b32 s3, ttmp6, 15
	s_mul_i32 s2, ttmp9, s2
	s_getreg_b32 s8, hwreg(HW_REG_IB_STS2, 6, 4)
	s_add_co_i32 s3, s3, s2
	s_cmp_eq_u32 s8, 0
	s_wait_xcnt 0x0
	s_load_b32 s0, s[0:1], 0x10
	s_cselect_b32 s2, ttmp9, s3
	s_wait_xcnt 0x0
	s_mov_b32 s1, exec_lo
	v_mad_u32 v2, 0x179, s2, v0
	s_wait_kmcnt 0x0
	global_load_b64 v[4:5], v2, s[4:5] scale_offset
	v_dual_add_nc_u32 v1, s0, v0 :: v_dual_lshlrev_b32 v0, 3, v0
	s_wait_loadcnt 0x0
	ds_store_b64 v0, v[4:5]
	s_wait_dscnt 0x0
	s_barrier_signal -1
	s_barrier_wait -1
	v_cmpx_gt_u32_e32 0x179, v1
	s_cbranch_execz .LBB3_2
; %bb.1:
	v_lshl_add_u32 v0, s0, 3, v0
	v_mov_b32_e32 v3, 0
	ds_load_b64 v[0:1], v0
	v_lshl_add_u64 v[2:3], v[2:3], 3, s[6:7]
	s_wait_dscnt 0x0
	global_store_b64 v[2:3], v[0:1], off
.LBB3_2:
	s_endpgm
	.section	.rodata,"a",@progbits
	.p2align	6, 0x0
	.amdhsa_kernel _Z21shuffle_offset_kernelILj377ElEvPT0_S1_i
		.amdhsa_group_segment_fixed_size 3016
		.amdhsa_private_segment_fixed_size 0
		.amdhsa_kernarg_size 20
		.amdhsa_user_sgpr_count 2
		.amdhsa_user_sgpr_dispatch_ptr 0
		.amdhsa_user_sgpr_queue_ptr 0
		.amdhsa_user_sgpr_kernarg_segment_ptr 1
		.amdhsa_user_sgpr_dispatch_id 0
		.amdhsa_user_sgpr_kernarg_preload_length 0
		.amdhsa_user_sgpr_kernarg_preload_offset 0
		.amdhsa_user_sgpr_private_segment_size 0
		.amdhsa_wavefront_size32 1
		.amdhsa_uses_dynamic_stack 0
		.amdhsa_enable_private_segment 0
		.amdhsa_system_sgpr_workgroup_id_x 1
		.amdhsa_system_sgpr_workgroup_id_y 0
		.amdhsa_system_sgpr_workgroup_id_z 0
		.amdhsa_system_sgpr_workgroup_info 0
		.amdhsa_system_vgpr_workitem_id 0
		.amdhsa_next_free_vgpr 6
		.amdhsa_next_free_sgpr 9
		.amdhsa_named_barrier_count 0
		.amdhsa_reserve_vcc 0
		.amdhsa_float_round_mode_32 0
		.amdhsa_float_round_mode_16_64 0
		.amdhsa_float_denorm_mode_32 3
		.amdhsa_float_denorm_mode_16_64 3
		.amdhsa_fp16_overflow 0
		.amdhsa_memory_ordered 1
		.amdhsa_forward_progress 1
		.amdhsa_inst_pref_size 2
		.amdhsa_round_robin_scheduling 0
		.amdhsa_exception_fp_ieee_invalid_op 0
		.amdhsa_exception_fp_denorm_src 0
		.amdhsa_exception_fp_ieee_div_zero 0
		.amdhsa_exception_fp_ieee_overflow 0
		.amdhsa_exception_fp_ieee_underflow 0
		.amdhsa_exception_fp_ieee_inexact 0
		.amdhsa_exception_int_div_zero 0
	.end_amdhsa_kernel
	.section	.text._Z21shuffle_offset_kernelILj377ElEvPT0_S1_i,"axG",@progbits,_Z21shuffle_offset_kernelILj377ElEvPT0_S1_i,comdat
.Lfunc_end3:
	.size	_Z21shuffle_offset_kernelILj377ElEvPT0_S1_i, .Lfunc_end3-_Z21shuffle_offset_kernelILj377ElEvPT0_S1_i
                                        ; -- End function
	.set _Z21shuffle_offset_kernelILj377ElEvPT0_S1_i.num_vgpr, 6
	.set _Z21shuffle_offset_kernelILj377ElEvPT0_S1_i.num_agpr, 0
	.set _Z21shuffle_offset_kernelILj377ElEvPT0_S1_i.numbered_sgpr, 9
	.set _Z21shuffle_offset_kernelILj377ElEvPT0_S1_i.num_named_barrier, 0
	.set _Z21shuffle_offset_kernelILj377ElEvPT0_S1_i.private_seg_size, 0
	.set _Z21shuffle_offset_kernelILj377ElEvPT0_S1_i.uses_vcc, 0
	.set _Z21shuffle_offset_kernelILj377ElEvPT0_S1_i.uses_flat_scratch, 0
	.set _Z21shuffle_offset_kernelILj377ElEvPT0_S1_i.has_dyn_sized_stack, 0
	.set _Z21shuffle_offset_kernelILj377ElEvPT0_S1_i.has_recursion, 0
	.set _Z21shuffle_offset_kernelILj377ElEvPT0_S1_i.has_indirect_call, 0
	.section	.AMDGPU.csdata,"",@progbits
; Kernel info:
; codeLenInByte = 188
; TotalNumSgprs: 9
; NumVgprs: 6
; ScratchSize: 0
; MemoryBound: 0
; FloatMode: 240
; IeeeMode: 1
; LDSByteSize: 3016 bytes/workgroup (compile time only)
; SGPRBlocks: 0
; VGPRBlocks: 0
; NumSGPRsForWavesPerEU: 9
; NumVGPRsForWavesPerEU: 6
; NamedBarCnt: 0
; Occupancy: 16
; WaveLimiterHint : 0
; COMPUTE_PGM_RSRC2:SCRATCH_EN: 0
; COMPUTE_PGM_RSRC2:USER_SGPR: 2
; COMPUTE_PGM_RSRC2:TRAP_HANDLER: 0
; COMPUTE_PGM_RSRC2:TGID_X_EN: 1
; COMPUTE_PGM_RSRC2:TGID_Y_EN: 0
; COMPUTE_PGM_RSRC2:TGID_Z_EN: 0
; COMPUTE_PGM_RSRC2:TIDIG_COMP_CNT: 0
	.section	.text._Z21shuffle_offset_kernelILj256ElEvPT0_S1_i,"axG",@progbits,_Z21shuffle_offset_kernelILj256ElEvPT0_S1_i,comdat
	.protected	_Z21shuffle_offset_kernelILj256ElEvPT0_S1_i ; -- Begin function _Z21shuffle_offset_kernelILj256ElEvPT0_S1_i
	.globl	_Z21shuffle_offset_kernelILj256ElEvPT0_S1_i
	.p2align	8
	.type	_Z21shuffle_offset_kernelILj256ElEvPT0_S1_i,@function
_Z21shuffle_offset_kernelILj256ElEvPT0_S1_i: ; @_Z21shuffle_offset_kernelILj256ElEvPT0_S1_i
; %bb.0:
	s_load_b128 s[4:7], s[0:1], 0x0
	s_bfe_u32 s2, ttmp6, 0x4000c
	s_and_b32 s3, ttmp6, 15
	s_add_co_i32 s2, s2, 1
	s_getreg_b32 s8, hwreg(HW_REG_IB_STS2, 6, 4)
	s_mul_i32 s2, ttmp9, s2
	s_wait_xcnt 0x0
	s_load_b32 s0, s[0:1], 0x10
	s_add_co_i32 s3, s3, s2
	s_cmp_eq_u32 s8, 0
	s_wait_xcnt 0x0
	s_mov_b32 s1, exec_lo
	s_cselect_b32 s2, ttmp9, s3
	s_delay_alu instid0(SALU_CYCLE_1)
	v_lshl_or_b32 v2, s2, 8, v0
	s_wait_kmcnt 0x0
	global_load_b64 v[4:5], v2, s[4:5] scale_offset
	v_dual_add_nc_u32 v1, s0, v0 :: v_dual_lshlrev_b32 v0, 3, v0
	s_wait_loadcnt 0x0
	ds_store_b64 v0, v[4:5]
	s_wait_dscnt 0x0
	s_barrier_signal -1
	s_barrier_wait -1
	v_cmpx_gt_u32_e32 0x100, v1
	s_cbranch_execz .LBB4_2
; %bb.1:
	v_lshl_add_u32 v0, s0, 3, v0
	v_mov_b32_e32 v3, 0
	ds_load_b64 v[0:1], v0
	v_lshl_add_u64 v[2:3], v[2:3], 3, s[6:7]
	s_wait_dscnt 0x0
	global_store_b64 v[2:3], v[0:1], off
.LBB4_2:
	s_endpgm
	.section	.rodata,"a",@progbits
	.p2align	6, 0x0
	.amdhsa_kernel _Z21shuffle_offset_kernelILj256ElEvPT0_S1_i
		.amdhsa_group_segment_fixed_size 2048
		.amdhsa_private_segment_fixed_size 0
		.amdhsa_kernarg_size 20
		.amdhsa_user_sgpr_count 2
		.amdhsa_user_sgpr_dispatch_ptr 0
		.amdhsa_user_sgpr_queue_ptr 0
		.amdhsa_user_sgpr_kernarg_segment_ptr 1
		.amdhsa_user_sgpr_dispatch_id 0
		.amdhsa_user_sgpr_kernarg_preload_length 0
		.amdhsa_user_sgpr_kernarg_preload_offset 0
		.amdhsa_user_sgpr_private_segment_size 0
		.amdhsa_wavefront_size32 1
		.amdhsa_uses_dynamic_stack 0
		.amdhsa_enable_private_segment 0
		.amdhsa_system_sgpr_workgroup_id_x 1
		.amdhsa_system_sgpr_workgroup_id_y 0
		.amdhsa_system_sgpr_workgroup_id_z 0
		.amdhsa_system_sgpr_workgroup_info 0
		.amdhsa_system_vgpr_workitem_id 0
		.amdhsa_next_free_vgpr 6
		.amdhsa_next_free_sgpr 9
		.amdhsa_named_barrier_count 0
		.amdhsa_reserve_vcc 0
		.amdhsa_float_round_mode_32 0
		.amdhsa_float_round_mode_16_64 0
		.amdhsa_float_denorm_mode_32 3
		.amdhsa_float_denorm_mode_16_64 3
		.amdhsa_fp16_overflow 0
		.amdhsa_memory_ordered 1
		.amdhsa_forward_progress 1
		.amdhsa_inst_pref_size 2
		.amdhsa_round_robin_scheduling 0
		.amdhsa_exception_fp_ieee_invalid_op 0
		.amdhsa_exception_fp_denorm_src 0
		.amdhsa_exception_fp_ieee_div_zero 0
		.amdhsa_exception_fp_ieee_overflow 0
		.amdhsa_exception_fp_ieee_underflow 0
		.amdhsa_exception_fp_ieee_inexact 0
		.amdhsa_exception_int_div_zero 0
	.end_amdhsa_kernel
	.section	.text._Z21shuffle_offset_kernelILj256ElEvPT0_S1_i,"axG",@progbits,_Z21shuffle_offset_kernelILj256ElEvPT0_S1_i,comdat
.Lfunc_end4:
	.size	_Z21shuffle_offset_kernelILj256ElEvPT0_S1_i, .Lfunc_end4-_Z21shuffle_offset_kernelILj256ElEvPT0_S1_i
                                        ; -- End function
	.set _Z21shuffle_offset_kernelILj256ElEvPT0_S1_i.num_vgpr, 6
	.set _Z21shuffle_offset_kernelILj256ElEvPT0_S1_i.num_agpr, 0
	.set _Z21shuffle_offset_kernelILj256ElEvPT0_S1_i.numbered_sgpr, 9
	.set _Z21shuffle_offset_kernelILj256ElEvPT0_S1_i.num_named_barrier, 0
	.set _Z21shuffle_offset_kernelILj256ElEvPT0_S1_i.private_seg_size, 0
	.set _Z21shuffle_offset_kernelILj256ElEvPT0_S1_i.uses_vcc, 0
	.set _Z21shuffle_offset_kernelILj256ElEvPT0_S1_i.uses_flat_scratch, 0
	.set _Z21shuffle_offset_kernelILj256ElEvPT0_S1_i.has_dyn_sized_stack, 0
	.set _Z21shuffle_offset_kernelILj256ElEvPT0_S1_i.has_recursion, 0
	.set _Z21shuffle_offset_kernelILj256ElEvPT0_S1_i.has_indirect_call, 0
	.section	.AMDGPU.csdata,"",@progbits
; Kernel info:
; codeLenInByte = 188
; TotalNumSgprs: 9
; NumVgprs: 6
; ScratchSize: 0
; MemoryBound: 0
; FloatMode: 240
; IeeeMode: 1
; LDSByteSize: 2048 bytes/workgroup (compile time only)
; SGPRBlocks: 0
; VGPRBlocks: 0
; NumSGPRsForWavesPerEU: 9
; NumVGPRsForWavesPerEU: 6
; NamedBarCnt: 0
; Occupancy: 16
; WaveLimiterHint : 0
; COMPUTE_PGM_RSRC2:SCRATCH_EN: 0
; COMPUTE_PGM_RSRC2:USER_SGPR: 2
; COMPUTE_PGM_RSRC2:TRAP_HANDLER: 0
; COMPUTE_PGM_RSRC2:TGID_X_EN: 1
; COMPUTE_PGM_RSRC2:TGID_Y_EN: 0
; COMPUTE_PGM_RSRC2:TGID_Z_EN: 0
; COMPUTE_PGM_RSRC2:TIDIG_COMP_CNT: 0
	.section	.text._Z21shuffle_offset_kernelILj64ElEvPT0_S1_i,"axG",@progbits,_Z21shuffle_offset_kernelILj64ElEvPT0_S1_i,comdat
	.protected	_Z21shuffle_offset_kernelILj64ElEvPT0_S1_i ; -- Begin function _Z21shuffle_offset_kernelILj64ElEvPT0_S1_i
	.globl	_Z21shuffle_offset_kernelILj64ElEvPT0_S1_i
	.p2align	8
	.type	_Z21shuffle_offset_kernelILj64ElEvPT0_S1_i,@function
_Z21shuffle_offset_kernelILj64ElEvPT0_S1_i: ; @_Z21shuffle_offset_kernelILj64ElEvPT0_S1_i
; %bb.0:
	s_load_b128 s[4:7], s[0:1], 0x0
	s_bfe_u32 s2, ttmp6, 0x4000c
	s_and_b32 s3, ttmp6, 15
	s_add_co_i32 s2, s2, 1
	s_getreg_b32 s8, hwreg(HW_REG_IB_STS2, 6, 4)
	s_mul_i32 s2, ttmp9, s2
	s_wait_xcnt 0x0
	s_load_b32 s0, s[0:1], 0x10
	s_add_co_i32 s3, s3, s2
	s_cmp_eq_u32 s8, 0
	s_wait_xcnt 0x0
	s_mov_b32 s1, exec_lo
	s_cselect_b32 s2, ttmp9, s3
	s_delay_alu instid0(SALU_CYCLE_1)
	v_lshl_or_b32 v2, s2, 6, v0
	s_wait_kmcnt 0x0
	global_load_b64 v[4:5], v2, s[4:5] scale_offset
	v_dual_add_nc_u32 v1, s0, v0 :: v_dual_lshlrev_b32 v0, 3, v0
	s_wait_loadcnt 0x0
	ds_store_b64 v0, v[4:5]
	s_wait_dscnt 0x0
	s_barrier_signal -1
	s_barrier_wait -1
	v_cmpx_gt_u32_e32 64, v1
	s_cbranch_execz .LBB5_2
; %bb.1:
	v_lshl_add_u32 v0, s0, 3, v0
	v_mov_b32_e32 v3, 0
	ds_load_b64 v[0:1], v0
	v_lshl_add_u64 v[2:3], v[2:3], 3, s[6:7]
	s_wait_dscnt 0x0
	global_store_b64 v[2:3], v[0:1], off
.LBB5_2:
	s_endpgm
	.section	.rodata,"a",@progbits
	.p2align	6, 0x0
	.amdhsa_kernel _Z21shuffle_offset_kernelILj64ElEvPT0_S1_i
		.amdhsa_group_segment_fixed_size 512
		.amdhsa_private_segment_fixed_size 0
		.amdhsa_kernarg_size 20
		.amdhsa_user_sgpr_count 2
		.amdhsa_user_sgpr_dispatch_ptr 0
		.amdhsa_user_sgpr_queue_ptr 0
		.amdhsa_user_sgpr_kernarg_segment_ptr 1
		.amdhsa_user_sgpr_dispatch_id 0
		.amdhsa_user_sgpr_kernarg_preload_length 0
		.amdhsa_user_sgpr_kernarg_preload_offset 0
		.amdhsa_user_sgpr_private_segment_size 0
		.amdhsa_wavefront_size32 1
		.amdhsa_uses_dynamic_stack 0
		.amdhsa_enable_private_segment 0
		.amdhsa_system_sgpr_workgroup_id_x 1
		.amdhsa_system_sgpr_workgroup_id_y 0
		.amdhsa_system_sgpr_workgroup_id_z 0
		.amdhsa_system_sgpr_workgroup_info 0
		.amdhsa_system_vgpr_workitem_id 0
		.amdhsa_next_free_vgpr 6
		.amdhsa_next_free_sgpr 9
		.amdhsa_named_barrier_count 0
		.amdhsa_reserve_vcc 0
		.amdhsa_float_round_mode_32 0
		.amdhsa_float_round_mode_16_64 0
		.amdhsa_float_denorm_mode_32 3
		.amdhsa_float_denorm_mode_16_64 3
		.amdhsa_fp16_overflow 0
		.amdhsa_memory_ordered 1
		.amdhsa_forward_progress 1
		.amdhsa_inst_pref_size 2
		.amdhsa_round_robin_scheduling 0
		.amdhsa_exception_fp_ieee_invalid_op 0
		.amdhsa_exception_fp_denorm_src 0
		.amdhsa_exception_fp_ieee_div_zero 0
		.amdhsa_exception_fp_ieee_overflow 0
		.amdhsa_exception_fp_ieee_underflow 0
		.amdhsa_exception_fp_ieee_inexact 0
		.amdhsa_exception_int_div_zero 0
	.end_amdhsa_kernel
	.section	.text._Z21shuffle_offset_kernelILj64ElEvPT0_S1_i,"axG",@progbits,_Z21shuffle_offset_kernelILj64ElEvPT0_S1_i,comdat
.Lfunc_end5:
	.size	_Z21shuffle_offset_kernelILj64ElEvPT0_S1_i, .Lfunc_end5-_Z21shuffle_offset_kernelILj64ElEvPT0_S1_i
                                        ; -- End function
	.set _Z21shuffle_offset_kernelILj64ElEvPT0_S1_i.num_vgpr, 6
	.set _Z21shuffle_offset_kernelILj64ElEvPT0_S1_i.num_agpr, 0
	.set _Z21shuffle_offset_kernelILj64ElEvPT0_S1_i.numbered_sgpr, 9
	.set _Z21shuffle_offset_kernelILj64ElEvPT0_S1_i.num_named_barrier, 0
	.set _Z21shuffle_offset_kernelILj64ElEvPT0_S1_i.private_seg_size, 0
	.set _Z21shuffle_offset_kernelILj64ElEvPT0_S1_i.uses_vcc, 0
	.set _Z21shuffle_offset_kernelILj64ElEvPT0_S1_i.uses_flat_scratch, 0
	.set _Z21shuffle_offset_kernelILj64ElEvPT0_S1_i.has_dyn_sized_stack, 0
	.set _Z21shuffle_offset_kernelILj64ElEvPT0_S1_i.has_recursion, 0
	.set _Z21shuffle_offset_kernelILj64ElEvPT0_S1_i.has_indirect_call, 0
	.section	.AMDGPU.csdata,"",@progbits
; Kernel info:
; codeLenInByte = 184
; TotalNumSgprs: 9
; NumVgprs: 6
; ScratchSize: 0
; MemoryBound: 0
; FloatMode: 240
; IeeeMode: 1
; LDSByteSize: 512 bytes/workgroup (compile time only)
; SGPRBlocks: 0
; VGPRBlocks: 0
; NumSGPRsForWavesPerEU: 9
; NumVGPRsForWavesPerEU: 6
; NamedBarCnt: 0
; Occupancy: 16
; WaveLimiterHint : 0
; COMPUTE_PGM_RSRC2:SCRATCH_EN: 0
; COMPUTE_PGM_RSRC2:USER_SGPR: 2
; COMPUTE_PGM_RSRC2:TRAP_HANDLER: 0
; COMPUTE_PGM_RSRC2:TGID_X_EN: 1
; COMPUTE_PGM_RSRC2:TGID_Y_EN: 0
; COMPUTE_PGM_RSRC2:TGID_Z_EN: 0
; COMPUTE_PGM_RSRC2:TIDIG_COMP_CNT: 0
	.section	.text._Z21shuffle_offset_kernelILj377EjEvPT0_S1_i,"axG",@progbits,_Z21shuffle_offset_kernelILj377EjEvPT0_S1_i,comdat
	.protected	_Z21shuffle_offset_kernelILj377EjEvPT0_S1_i ; -- Begin function _Z21shuffle_offset_kernelILj377EjEvPT0_S1_i
	.globl	_Z21shuffle_offset_kernelILj377EjEvPT0_S1_i
	.p2align	8
	.type	_Z21shuffle_offset_kernelILj377EjEvPT0_S1_i,@function
_Z21shuffle_offset_kernelILj377EjEvPT0_S1_i: ; @_Z21shuffle_offset_kernelILj377EjEvPT0_S1_i
; %bb.0:
	s_bfe_u32 s2, ttmp6, 0x4000c
	s_load_b128 s[4:7], s[0:1], 0x0
	s_add_co_i32 s2, s2, 1
	s_and_b32 s3, ttmp6, 15
	s_mul_i32 s2, ttmp9, s2
	s_getreg_b32 s8, hwreg(HW_REG_IB_STS2, 6, 4)
	s_add_co_i32 s3, s3, s2
	s_cmp_eq_u32 s8, 0
	s_wait_xcnt 0x0
	s_load_b32 s0, s[0:1], 0x10
	s_cselect_b32 s2, ttmp9, s3
	s_wait_xcnt 0x0
	s_mov_b32 s1, exec_lo
	v_mad_u32 v2, 0x179, s2, v0
	s_wait_kmcnt 0x0
	global_load_b32 v1, v2, s[4:5] scale_offset
	v_dual_add_nc_u32 v3, s0, v0 :: v_dual_lshlrev_b32 v0, 2, v0
	s_wait_loadcnt 0x0
	ds_store_b32 v0, v1
	s_wait_dscnt 0x0
	s_barrier_signal -1
	s_barrier_wait -1
	v_cmpx_gt_u32_e32 0x179, v3
	s_cbranch_execz .LBB6_2
; %bb.1:
	v_lshl_add_u32 v0, s0, 2, v0
	v_mov_b32_e32 v3, 0
	ds_load_b32 v4, v0
	v_lshl_add_u64 v[0:1], v[2:3], 2, s[6:7]
	s_wait_dscnt 0x0
	global_store_b32 v[0:1], v4, off
.LBB6_2:
	s_endpgm
	.section	.rodata,"a",@progbits
	.p2align	6, 0x0
	.amdhsa_kernel _Z21shuffle_offset_kernelILj377EjEvPT0_S1_i
		.amdhsa_group_segment_fixed_size 1508
		.amdhsa_private_segment_fixed_size 0
		.amdhsa_kernarg_size 20
		.amdhsa_user_sgpr_count 2
		.amdhsa_user_sgpr_dispatch_ptr 0
		.amdhsa_user_sgpr_queue_ptr 0
		.amdhsa_user_sgpr_kernarg_segment_ptr 1
		.amdhsa_user_sgpr_dispatch_id 0
		.amdhsa_user_sgpr_kernarg_preload_length 0
		.amdhsa_user_sgpr_kernarg_preload_offset 0
		.amdhsa_user_sgpr_private_segment_size 0
		.amdhsa_wavefront_size32 1
		.amdhsa_uses_dynamic_stack 0
		.amdhsa_enable_private_segment 0
		.amdhsa_system_sgpr_workgroup_id_x 1
		.amdhsa_system_sgpr_workgroup_id_y 0
		.amdhsa_system_sgpr_workgroup_id_z 0
		.amdhsa_system_sgpr_workgroup_info 0
		.amdhsa_system_vgpr_workitem_id 0
		.amdhsa_next_free_vgpr 5
		.amdhsa_next_free_sgpr 9
		.amdhsa_named_barrier_count 0
		.amdhsa_reserve_vcc 0
		.amdhsa_float_round_mode_32 0
		.amdhsa_float_round_mode_16_64 0
		.amdhsa_float_denorm_mode_32 3
		.amdhsa_float_denorm_mode_16_64 3
		.amdhsa_fp16_overflow 0
		.amdhsa_memory_ordered 1
		.amdhsa_forward_progress 1
		.amdhsa_inst_pref_size 2
		.amdhsa_round_robin_scheduling 0
		.amdhsa_exception_fp_ieee_invalid_op 0
		.amdhsa_exception_fp_denorm_src 0
		.amdhsa_exception_fp_ieee_div_zero 0
		.amdhsa_exception_fp_ieee_overflow 0
		.amdhsa_exception_fp_ieee_underflow 0
		.amdhsa_exception_fp_ieee_inexact 0
		.amdhsa_exception_int_div_zero 0
	.end_amdhsa_kernel
	.section	.text._Z21shuffle_offset_kernelILj377EjEvPT0_S1_i,"axG",@progbits,_Z21shuffle_offset_kernelILj377EjEvPT0_S1_i,comdat
.Lfunc_end6:
	.size	_Z21shuffle_offset_kernelILj377EjEvPT0_S1_i, .Lfunc_end6-_Z21shuffle_offset_kernelILj377EjEvPT0_S1_i
                                        ; -- End function
	.set _Z21shuffle_offset_kernelILj377EjEvPT0_S1_i.num_vgpr, 5
	.set _Z21shuffle_offset_kernelILj377EjEvPT0_S1_i.num_agpr, 0
	.set _Z21shuffle_offset_kernelILj377EjEvPT0_S1_i.numbered_sgpr, 9
	.set _Z21shuffle_offset_kernelILj377EjEvPT0_S1_i.num_named_barrier, 0
	.set _Z21shuffle_offset_kernelILj377EjEvPT0_S1_i.private_seg_size, 0
	.set _Z21shuffle_offset_kernelILj377EjEvPT0_S1_i.uses_vcc, 0
	.set _Z21shuffle_offset_kernelILj377EjEvPT0_S1_i.uses_flat_scratch, 0
	.set _Z21shuffle_offset_kernelILj377EjEvPT0_S1_i.has_dyn_sized_stack, 0
	.set _Z21shuffle_offset_kernelILj377EjEvPT0_S1_i.has_recursion, 0
	.set _Z21shuffle_offset_kernelILj377EjEvPT0_S1_i.has_indirect_call, 0
	.section	.AMDGPU.csdata,"",@progbits
; Kernel info:
; codeLenInByte = 188
; TotalNumSgprs: 9
; NumVgprs: 5
; ScratchSize: 0
; MemoryBound: 0
; FloatMode: 240
; IeeeMode: 1
; LDSByteSize: 1508 bytes/workgroup (compile time only)
; SGPRBlocks: 0
; VGPRBlocks: 0
; NumSGPRsForWavesPerEU: 9
; NumVGPRsForWavesPerEU: 5
; NamedBarCnt: 0
; Occupancy: 16
; WaveLimiterHint : 0
; COMPUTE_PGM_RSRC2:SCRATCH_EN: 0
; COMPUTE_PGM_RSRC2:USER_SGPR: 2
; COMPUTE_PGM_RSRC2:TRAP_HANDLER: 0
; COMPUTE_PGM_RSRC2:TGID_X_EN: 1
; COMPUTE_PGM_RSRC2:TGID_Y_EN: 0
; COMPUTE_PGM_RSRC2:TGID_Z_EN: 0
; COMPUTE_PGM_RSRC2:TIDIG_COMP_CNT: 0
	.section	.text._Z21shuffle_offset_kernelILj256EjEvPT0_S1_i,"axG",@progbits,_Z21shuffle_offset_kernelILj256EjEvPT0_S1_i,comdat
	.protected	_Z21shuffle_offset_kernelILj256EjEvPT0_S1_i ; -- Begin function _Z21shuffle_offset_kernelILj256EjEvPT0_S1_i
	.globl	_Z21shuffle_offset_kernelILj256EjEvPT0_S1_i
	.p2align	8
	.type	_Z21shuffle_offset_kernelILj256EjEvPT0_S1_i,@function
_Z21shuffle_offset_kernelILj256EjEvPT0_S1_i: ; @_Z21shuffle_offset_kernelILj256EjEvPT0_S1_i
; %bb.0:
	s_load_b128 s[4:7], s[0:1], 0x0
	s_bfe_u32 s2, ttmp6, 0x4000c
	s_and_b32 s3, ttmp6, 15
	s_add_co_i32 s2, s2, 1
	s_getreg_b32 s8, hwreg(HW_REG_IB_STS2, 6, 4)
	s_mul_i32 s2, ttmp9, s2
	s_wait_xcnt 0x0
	s_load_b32 s0, s[0:1], 0x10
	s_add_co_i32 s3, s3, s2
	s_cmp_eq_u32 s8, 0
	s_wait_xcnt 0x0
	s_mov_b32 s1, exec_lo
	s_cselect_b32 s2, ttmp9, s3
	s_delay_alu instid0(SALU_CYCLE_1)
	v_lshl_or_b32 v2, s2, 8, v0
	s_wait_kmcnt 0x0
	global_load_b32 v1, v2, s[4:5] scale_offset
	v_dual_add_nc_u32 v3, s0, v0 :: v_dual_lshlrev_b32 v0, 2, v0
	s_wait_loadcnt 0x0
	ds_store_b32 v0, v1
	s_wait_dscnt 0x0
	s_barrier_signal -1
	s_barrier_wait -1
	v_cmpx_gt_u32_e32 0x100, v3
	s_cbranch_execz .LBB7_2
; %bb.1:
	v_lshl_add_u32 v0, s0, 2, v0
	v_mov_b32_e32 v3, 0
	ds_load_b32 v4, v0
	v_lshl_add_u64 v[0:1], v[2:3], 2, s[6:7]
	s_wait_dscnt 0x0
	global_store_b32 v[0:1], v4, off
.LBB7_2:
	s_endpgm
	.section	.rodata,"a",@progbits
	.p2align	6, 0x0
	.amdhsa_kernel _Z21shuffle_offset_kernelILj256EjEvPT0_S1_i
		.amdhsa_group_segment_fixed_size 1024
		.amdhsa_private_segment_fixed_size 0
		.amdhsa_kernarg_size 20
		.amdhsa_user_sgpr_count 2
		.amdhsa_user_sgpr_dispatch_ptr 0
		.amdhsa_user_sgpr_queue_ptr 0
		.amdhsa_user_sgpr_kernarg_segment_ptr 1
		.amdhsa_user_sgpr_dispatch_id 0
		.amdhsa_user_sgpr_kernarg_preload_length 0
		.amdhsa_user_sgpr_kernarg_preload_offset 0
		.amdhsa_user_sgpr_private_segment_size 0
		.amdhsa_wavefront_size32 1
		.amdhsa_uses_dynamic_stack 0
		.amdhsa_enable_private_segment 0
		.amdhsa_system_sgpr_workgroup_id_x 1
		.amdhsa_system_sgpr_workgroup_id_y 0
		.amdhsa_system_sgpr_workgroup_id_z 0
		.amdhsa_system_sgpr_workgroup_info 0
		.amdhsa_system_vgpr_workitem_id 0
		.amdhsa_next_free_vgpr 5
		.amdhsa_next_free_sgpr 9
		.amdhsa_named_barrier_count 0
		.amdhsa_reserve_vcc 0
		.amdhsa_float_round_mode_32 0
		.amdhsa_float_round_mode_16_64 0
		.amdhsa_float_denorm_mode_32 3
		.amdhsa_float_denorm_mode_16_64 3
		.amdhsa_fp16_overflow 0
		.amdhsa_memory_ordered 1
		.amdhsa_forward_progress 1
		.amdhsa_inst_pref_size 2
		.amdhsa_round_robin_scheduling 0
		.amdhsa_exception_fp_ieee_invalid_op 0
		.amdhsa_exception_fp_denorm_src 0
		.amdhsa_exception_fp_ieee_div_zero 0
		.amdhsa_exception_fp_ieee_overflow 0
		.amdhsa_exception_fp_ieee_underflow 0
		.amdhsa_exception_fp_ieee_inexact 0
		.amdhsa_exception_int_div_zero 0
	.end_amdhsa_kernel
	.section	.text._Z21shuffle_offset_kernelILj256EjEvPT0_S1_i,"axG",@progbits,_Z21shuffle_offset_kernelILj256EjEvPT0_S1_i,comdat
.Lfunc_end7:
	.size	_Z21shuffle_offset_kernelILj256EjEvPT0_S1_i, .Lfunc_end7-_Z21shuffle_offset_kernelILj256EjEvPT0_S1_i
                                        ; -- End function
	.set _Z21shuffle_offset_kernelILj256EjEvPT0_S1_i.num_vgpr, 5
	.set _Z21shuffle_offset_kernelILj256EjEvPT0_S1_i.num_agpr, 0
	.set _Z21shuffle_offset_kernelILj256EjEvPT0_S1_i.numbered_sgpr, 9
	.set _Z21shuffle_offset_kernelILj256EjEvPT0_S1_i.num_named_barrier, 0
	.set _Z21shuffle_offset_kernelILj256EjEvPT0_S1_i.private_seg_size, 0
	.set _Z21shuffle_offset_kernelILj256EjEvPT0_S1_i.uses_vcc, 0
	.set _Z21shuffle_offset_kernelILj256EjEvPT0_S1_i.uses_flat_scratch, 0
	.set _Z21shuffle_offset_kernelILj256EjEvPT0_S1_i.has_dyn_sized_stack, 0
	.set _Z21shuffle_offset_kernelILj256EjEvPT0_S1_i.has_recursion, 0
	.set _Z21shuffle_offset_kernelILj256EjEvPT0_S1_i.has_indirect_call, 0
	.section	.AMDGPU.csdata,"",@progbits
; Kernel info:
; codeLenInByte = 188
; TotalNumSgprs: 9
; NumVgprs: 5
; ScratchSize: 0
; MemoryBound: 0
; FloatMode: 240
; IeeeMode: 1
; LDSByteSize: 1024 bytes/workgroup (compile time only)
; SGPRBlocks: 0
; VGPRBlocks: 0
; NumSGPRsForWavesPerEU: 9
; NumVGPRsForWavesPerEU: 5
; NamedBarCnt: 0
; Occupancy: 16
; WaveLimiterHint : 0
; COMPUTE_PGM_RSRC2:SCRATCH_EN: 0
; COMPUTE_PGM_RSRC2:USER_SGPR: 2
; COMPUTE_PGM_RSRC2:TRAP_HANDLER: 0
; COMPUTE_PGM_RSRC2:TGID_X_EN: 1
; COMPUTE_PGM_RSRC2:TGID_Y_EN: 0
; COMPUTE_PGM_RSRC2:TGID_Z_EN: 0
; COMPUTE_PGM_RSRC2:TIDIG_COMP_CNT: 0
	.section	.text._Z21shuffle_offset_kernelILj64EjEvPT0_S1_i,"axG",@progbits,_Z21shuffle_offset_kernelILj64EjEvPT0_S1_i,comdat
	.protected	_Z21shuffle_offset_kernelILj64EjEvPT0_S1_i ; -- Begin function _Z21shuffle_offset_kernelILj64EjEvPT0_S1_i
	.globl	_Z21shuffle_offset_kernelILj64EjEvPT0_S1_i
	.p2align	8
	.type	_Z21shuffle_offset_kernelILj64EjEvPT0_S1_i,@function
_Z21shuffle_offset_kernelILj64EjEvPT0_S1_i: ; @_Z21shuffle_offset_kernelILj64EjEvPT0_S1_i
; %bb.0:
	s_load_b128 s[4:7], s[0:1], 0x0
	s_bfe_u32 s2, ttmp6, 0x4000c
	s_and_b32 s3, ttmp6, 15
	s_add_co_i32 s2, s2, 1
	s_getreg_b32 s8, hwreg(HW_REG_IB_STS2, 6, 4)
	s_mul_i32 s2, ttmp9, s2
	s_wait_xcnt 0x0
	s_load_b32 s0, s[0:1], 0x10
	s_add_co_i32 s3, s3, s2
	s_cmp_eq_u32 s8, 0
	s_wait_xcnt 0x0
	s_mov_b32 s1, exec_lo
	s_cselect_b32 s2, ttmp9, s3
	s_delay_alu instid0(SALU_CYCLE_1)
	v_lshl_or_b32 v2, s2, 6, v0
	s_wait_kmcnt 0x0
	global_load_b32 v1, v2, s[4:5] scale_offset
	v_dual_add_nc_u32 v3, s0, v0 :: v_dual_lshlrev_b32 v0, 2, v0
	s_wait_loadcnt 0x0
	ds_store_b32 v0, v1
	s_wait_dscnt 0x0
	s_barrier_signal -1
	s_barrier_wait -1
	v_cmpx_gt_u32_e32 64, v3
	s_cbranch_execz .LBB8_2
; %bb.1:
	v_lshl_add_u32 v0, s0, 2, v0
	v_mov_b32_e32 v3, 0
	ds_load_b32 v4, v0
	v_lshl_add_u64 v[0:1], v[2:3], 2, s[6:7]
	s_wait_dscnt 0x0
	global_store_b32 v[0:1], v4, off
.LBB8_2:
	s_endpgm
	.section	.rodata,"a",@progbits
	.p2align	6, 0x0
	.amdhsa_kernel _Z21shuffle_offset_kernelILj64EjEvPT0_S1_i
		.amdhsa_group_segment_fixed_size 256
		.amdhsa_private_segment_fixed_size 0
		.amdhsa_kernarg_size 20
		.amdhsa_user_sgpr_count 2
		.amdhsa_user_sgpr_dispatch_ptr 0
		.amdhsa_user_sgpr_queue_ptr 0
		.amdhsa_user_sgpr_kernarg_segment_ptr 1
		.amdhsa_user_sgpr_dispatch_id 0
		.amdhsa_user_sgpr_kernarg_preload_length 0
		.amdhsa_user_sgpr_kernarg_preload_offset 0
		.amdhsa_user_sgpr_private_segment_size 0
		.amdhsa_wavefront_size32 1
		.amdhsa_uses_dynamic_stack 0
		.amdhsa_enable_private_segment 0
		.amdhsa_system_sgpr_workgroup_id_x 1
		.amdhsa_system_sgpr_workgroup_id_y 0
		.amdhsa_system_sgpr_workgroup_id_z 0
		.amdhsa_system_sgpr_workgroup_info 0
		.amdhsa_system_vgpr_workitem_id 0
		.amdhsa_next_free_vgpr 5
		.amdhsa_next_free_sgpr 9
		.amdhsa_named_barrier_count 0
		.amdhsa_reserve_vcc 0
		.amdhsa_float_round_mode_32 0
		.amdhsa_float_round_mode_16_64 0
		.amdhsa_float_denorm_mode_32 3
		.amdhsa_float_denorm_mode_16_64 3
		.amdhsa_fp16_overflow 0
		.amdhsa_memory_ordered 1
		.amdhsa_forward_progress 1
		.amdhsa_inst_pref_size 2
		.amdhsa_round_robin_scheduling 0
		.amdhsa_exception_fp_ieee_invalid_op 0
		.amdhsa_exception_fp_denorm_src 0
		.amdhsa_exception_fp_ieee_div_zero 0
		.amdhsa_exception_fp_ieee_overflow 0
		.amdhsa_exception_fp_ieee_underflow 0
		.amdhsa_exception_fp_ieee_inexact 0
		.amdhsa_exception_int_div_zero 0
	.end_amdhsa_kernel
	.section	.text._Z21shuffle_offset_kernelILj64EjEvPT0_S1_i,"axG",@progbits,_Z21shuffle_offset_kernelILj64EjEvPT0_S1_i,comdat
.Lfunc_end8:
	.size	_Z21shuffle_offset_kernelILj64EjEvPT0_S1_i, .Lfunc_end8-_Z21shuffle_offset_kernelILj64EjEvPT0_S1_i
                                        ; -- End function
	.set _Z21shuffle_offset_kernelILj64EjEvPT0_S1_i.num_vgpr, 5
	.set _Z21shuffle_offset_kernelILj64EjEvPT0_S1_i.num_agpr, 0
	.set _Z21shuffle_offset_kernelILj64EjEvPT0_S1_i.numbered_sgpr, 9
	.set _Z21shuffle_offset_kernelILj64EjEvPT0_S1_i.num_named_barrier, 0
	.set _Z21shuffle_offset_kernelILj64EjEvPT0_S1_i.private_seg_size, 0
	.set _Z21shuffle_offset_kernelILj64EjEvPT0_S1_i.uses_vcc, 0
	.set _Z21shuffle_offset_kernelILj64EjEvPT0_S1_i.uses_flat_scratch, 0
	.set _Z21shuffle_offset_kernelILj64EjEvPT0_S1_i.has_dyn_sized_stack, 0
	.set _Z21shuffle_offset_kernelILj64EjEvPT0_S1_i.has_recursion, 0
	.set _Z21shuffle_offset_kernelILj64EjEvPT0_S1_i.has_indirect_call, 0
	.section	.AMDGPU.csdata,"",@progbits
; Kernel info:
; codeLenInByte = 184
; TotalNumSgprs: 9
; NumVgprs: 5
; ScratchSize: 0
; MemoryBound: 0
; FloatMode: 240
; IeeeMode: 1
; LDSByteSize: 256 bytes/workgroup (compile time only)
; SGPRBlocks: 0
; VGPRBlocks: 0
; NumSGPRsForWavesPerEU: 9
; NumVGPRsForWavesPerEU: 5
; NamedBarCnt: 0
; Occupancy: 16
; WaveLimiterHint : 0
; COMPUTE_PGM_RSRC2:SCRATCH_EN: 0
; COMPUTE_PGM_RSRC2:USER_SGPR: 2
; COMPUTE_PGM_RSRC2:TRAP_HANDLER: 0
; COMPUTE_PGM_RSRC2:TGID_X_EN: 1
; COMPUTE_PGM_RSRC2:TGID_Y_EN: 0
; COMPUTE_PGM_RSRC2:TGID_Z_EN: 0
; COMPUTE_PGM_RSRC2:TIDIG_COMP_CNT: 0
	.section	.text._Z21shuffle_offset_kernelILj255EiEvPT0_S1_i,"axG",@progbits,_Z21shuffle_offset_kernelILj255EiEvPT0_S1_i,comdat
	.protected	_Z21shuffle_offset_kernelILj255EiEvPT0_S1_i ; -- Begin function _Z21shuffle_offset_kernelILj255EiEvPT0_S1_i
	.globl	_Z21shuffle_offset_kernelILj255EiEvPT0_S1_i
	.p2align	8
	.type	_Z21shuffle_offset_kernelILj255EiEvPT0_S1_i,@function
_Z21shuffle_offset_kernelILj255EiEvPT0_S1_i: ; @_Z21shuffle_offset_kernelILj255EiEvPT0_S1_i
; %bb.0:
	s_bfe_u32 s2, ttmp6, 0x4000c
	s_load_b128 s[4:7], s[0:1], 0x0
	s_add_co_i32 s2, s2, 1
	s_and_b32 s3, ttmp6, 15
	s_mul_i32 s2, ttmp9, s2
	s_getreg_b32 s8, hwreg(HW_REG_IB_STS2, 6, 4)
	s_add_co_i32 s3, s3, s2
	s_cmp_eq_u32 s8, 0
	s_wait_xcnt 0x0
	s_load_b32 s0, s[0:1], 0x10
	s_cselect_b32 s2, ttmp9, s3
	s_wait_xcnt 0x0
	s_mov_b32 s1, exec_lo
	v_mad_u32 v2, 0xff, s2, v0
	s_wait_kmcnt 0x0
	global_load_b32 v1, v2, s[4:5] scale_offset
	v_dual_add_nc_u32 v3, s0, v0 :: v_dual_lshlrev_b32 v0, 2, v0
	s_wait_loadcnt 0x0
	ds_store_b32 v0, v1
	s_wait_dscnt 0x0
	s_barrier_signal -1
	s_barrier_wait -1
	v_cmpx_gt_u32_e32 0xff, v3
	s_cbranch_execz .LBB9_2
; %bb.1:
	v_lshl_add_u32 v0, s0, 2, v0
	v_mov_b32_e32 v3, 0
	ds_load_b32 v4, v0
	v_lshl_add_u64 v[0:1], v[2:3], 2, s[6:7]
	s_wait_dscnt 0x0
	global_store_b32 v[0:1], v4, off
.LBB9_2:
	s_endpgm
	.section	.rodata,"a",@progbits
	.p2align	6, 0x0
	.amdhsa_kernel _Z21shuffle_offset_kernelILj255EiEvPT0_S1_i
		.amdhsa_group_segment_fixed_size 1020
		.amdhsa_private_segment_fixed_size 0
		.amdhsa_kernarg_size 20
		.amdhsa_user_sgpr_count 2
		.amdhsa_user_sgpr_dispatch_ptr 0
		.amdhsa_user_sgpr_queue_ptr 0
		.amdhsa_user_sgpr_kernarg_segment_ptr 1
		.amdhsa_user_sgpr_dispatch_id 0
		.amdhsa_user_sgpr_kernarg_preload_length 0
		.amdhsa_user_sgpr_kernarg_preload_offset 0
		.amdhsa_user_sgpr_private_segment_size 0
		.amdhsa_wavefront_size32 1
		.amdhsa_uses_dynamic_stack 0
		.amdhsa_enable_private_segment 0
		.amdhsa_system_sgpr_workgroup_id_x 1
		.amdhsa_system_sgpr_workgroup_id_y 0
		.amdhsa_system_sgpr_workgroup_id_z 0
		.amdhsa_system_sgpr_workgroup_info 0
		.amdhsa_system_vgpr_workitem_id 0
		.amdhsa_next_free_vgpr 5
		.amdhsa_next_free_sgpr 9
		.amdhsa_named_barrier_count 0
		.amdhsa_reserve_vcc 0
		.amdhsa_float_round_mode_32 0
		.amdhsa_float_round_mode_16_64 0
		.amdhsa_float_denorm_mode_32 3
		.amdhsa_float_denorm_mode_16_64 3
		.amdhsa_fp16_overflow 0
		.amdhsa_memory_ordered 1
		.amdhsa_forward_progress 1
		.amdhsa_inst_pref_size 2
		.amdhsa_round_robin_scheduling 0
		.amdhsa_exception_fp_ieee_invalid_op 0
		.amdhsa_exception_fp_denorm_src 0
		.amdhsa_exception_fp_ieee_div_zero 0
		.amdhsa_exception_fp_ieee_overflow 0
		.amdhsa_exception_fp_ieee_underflow 0
		.amdhsa_exception_fp_ieee_inexact 0
		.amdhsa_exception_int_div_zero 0
	.end_amdhsa_kernel
	.section	.text._Z21shuffle_offset_kernelILj255EiEvPT0_S1_i,"axG",@progbits,_Z21shuffle_offset_kernelILj255EiEvPT0_S1_i,comdat
.Lfunc_end9:
	.size	_Z21shuffle_offset_kernelILj255EiEvPT0_S1_i, .Lfunc_end9-_Z21shuffle_offset_kernelILj255EiEvPT0_S1_i
                                        ; -- End function
	.set _Z21shuffle_offset_kernelILj255EiEvPT0_S1_i.num_vgpr, 5
	.set _Z21shuffle_offset_kernelILj255EiEvPT0_S1_i.num_agpr, 0
	.set _Z21shuffle_offset_kernelILj255EiEvPT0_S1_i.numbered_sgpr, 9
	.set _Z21shuffle_offset_kernelILj255EiEvPT0_S1_i.num_named_barrier, 0
	.set _Z21shuffle_offset_kernelILj255EiEvPT0_S1_i.private_seg_size, 0
	.set _Z21shuffle_offset_kernelILj255EiEvPT0_S1_i.uses_vcc, 0
	.set _Z21shuffle_offset_kernelILj255EiEvPT0_S1_i.uses_flat_scratch, 0
	.set _Z21shuffle_offset_kernelILj255EiEvPT0_S1_i.has_dyn_sized_stack, 0
	.set _Z21shuffle_offset_kernelILj255EiEvPT0_S1_i.has_recursion, 0
	.set _Z21shuffle_offset_kernelILj255EiEvPT0_S1_i.has_indirect_call, 0
	.section	.AMDGPU.csdata,"",@progbits
; Kernel info:
; codeLenInByte = 188
; TotalNumSgprs: 9
; NumVgprs: 5
; ScratchSize: 0
; MemoryBound: 0
; FloatMode: 240
; IeeeMode: 1
; LDSByteSize: 1020 bytes/workgroup (compile time only)
; SGPRBlocks: 0
; VGPRBlocks: 0
; NumSGPRsForWavesPerEU: 9
; NumVGPRsForWavesPerEU: 5
; NamedBarCnt: 0
; Occupancy: 16
; WaveLimiterHint : 0
; COMPUTE_PGM_RSRC2:SCRATCH_EN: 0
; COMPUTE_PGM_RSRC2:USER_SGPR: 2
; COMPUTE_PGM_RSRC2:TRAP_HANDLER: 0
; COMPUTE_PGM_RSRC2:TGID_X_EN: 1
; COMPUTE_PGM_RSRC2:TGID_Y_EN: 0
; COMPUTE_PGM_RSRC2:TGID_Z_EN: 0
; COMPUTE_PGM_RSRC2:TIDIG_COMP_CNT: 0
	.section	.text._Z21shuffle_offset_kernelILj162EiEvPT0_S1_i,"axG",@progbits,_Z21shuffle_offset_kernelILj162EiEvPT0_S1_i,comdat
	.protected	_Z21shuffle_offset_kernelILj162EiEvPT0_S1_i ; -- Begin function _Z21shuffle_offset_kernelILj162EiEvPT0_S1_i
	.globl	_Z21shuffle_offset_kernelILj162EiEvPT0_S1_i
	.p2align	8
	.type	_Z21shuffle_offset_kernelILj162EiEvPT0_S1_i,@function
_Z21shuffle_offset_kernelILj162EiEvPT0_S1_i: ; @_Z21shuffle_offset_kernelILj162EiEvPT0_S1_i
; %bb.0:
	s_bfe_u32 s2, ttmp6, 0x4000c
	s_load_b128 s[4:7], s[0:1], 0x0
	s_add_co_i32 s2, s2, 1
	s_and_b32 s3, ttmp6, 15
	s_mul_i32 s2, ttmp9, s2
	s_getreg_b32 s8, hwreg(HW_REG_IB_STS2, 6, 4)
	s_add_co_i32 s3, s3, s2
	s_cmp_eq_u32 s8, 0
	s_wait_xcnt 0x0
	s_load_b32 s0, s[0:1], 0x10
	s_cselect_b32 s2, ttmp9, s3
	s_wait_xcnt 0x0
	s_mov_b32 s1, exec_lo
	v_mad_u32 v2, 0xa2, s2, v0
	s_wait_kmcnt 0x0
	global_load_b32 v1, v2, s[4:5] scale_offset
	v_dual_add_nc_u32 v3, s0, v0 :: v_dual_lshlrev_b32 v0, 2, v0
	s_wait_loadcnt 0x0
	ds_store_b32 v0, v1
	s_wait_dscnt 0x0
	s_barrier_signal -1
	s_barrier_wait -1
	v_cmpx_gt_u32_e32 0xa2, v3
	s_cbranch_execz .LBB10_2
; %bb.1:
	v_lshl_add_u32 v0, s0, 2, v0
	v_mov_b32_e32 v3, 0
	ds_load_b32 v4, v0
	v_lshl_add_u64 v[0:1], v[2:3], 2, s[6:7]
	s_wait_dscnt 0x0
	global_store_b32 v[0:1], v4, off
.LBB10_2:
	s_endpgm
	.section	.rodata,"a",@progbits
	.p2align	6, 0x0
	.amdhsa_kernel _Z21shuffle_offset_kernelILj162EiEvPT0_S1_i
		.amdhsa_group_segment_fixed_size 648
		.amdhsa_private_segment_fixed_size 0
		.amdhsa_kernarg_size 20
		.amdhsa_user_sgpr_count 2
		.amdhsa_user_sgpr_dispatch_ptr 0
		.amdhsa_user_sgpr_queue_ptr 0
		.amdhsa_user_sgpr_kernarg_segment_ptr 1
		.amdhsa_user_sgpr_dispatch_id 0
		.amdhsa_user_sgpr_kernarg_preload_length 0
		.amdhsa_user_sgpr_kernarg_preload_offset 0
		.amdhsa_user_sgpr_private_segment_size 0
		.amdhsa_wavefront_size32 1
		.amdhsa_uses_dynamic_stack 0
		.amdhsa_enable_private_segment 0
		.amdhsa_system_sgpr_workgroup_id_x 1
		.amdhsa_system_sgpr_workgroup_id_y 0
		.amdhsa_system_sgpr_workgroup_id_z 0
		.amdhsa_system_sgpr_workgroup_info 0
		.amdhsa_system_vgpr_workitem_id 0
		.amdhsa_next_free_vgpr 5
		.amdhsa_next_free_sgpr 9
		.amdhsa_named_barrier_count 0
		.amdhsa_reserve_vcc 0
		.amdhsa_float_round_mode_32 0
		.amdhsa_float_round_mode_16_64 0
		.amdhsa_float_denorm_mode_32 3
		.amdhsa_float_denorm_mode_16_64 3
		.amdhsa_fp16_overflow 0
		.amdhsa_memory_ordered 1
		.amdhsa_forward_progress 1
		.amdhsa_inst_pref_size 2
		.amdhsa_round_robin_scheduling 0
		.amdhsa_exception_fp_ieee_invalid_op 0
		.amdhsa_exception_fp_denorm_src 0
		.amdhsa_exception_fp_ieee_div_zero 0
		.amdhsa_exception_fp_ieee_overflow 0
		.amdhsa_exception_fp_ieee_underflow 0
		.amdhsa_exception_fp_ieee_inexact 0
		.amdhsa_exception_int_div_zero 0
	.end_amdhsa_kernel
	.section	.text._Z21shuffle_offset_kernelILj162EiEvPT0_S1_i,"axG",@progbits,_Z21shuffle_offset_kernelILj162EiEvPT0_S1_i,comdat
.Lfunc_end10:
	.size	_Z21shuffle_offset_kernelILj162EiEvPT0_S1_i, .Lfunc_end10-_Z21shuffle_offset_kernelILj162EiEvPT0_S1_i
                                        ; -- End function
	.set _Z21shuffle_offset_kernelILj162EiEvPT0_S1_i.num_vgpr, 5
	.set _Z21shuffle_offset_kernelILj162EiEvPT0_S1_i.num_agpr, 0
	.set _Z21shuffle_offset_kernelILj162EiEvPT0_S1_i.numbered_sgpr, 9
	.set _Z21shuffle_offset_kernelILj162EiEvPT0_S1_i.num_named_barrier, 0
	.set _Z21shuffle_offset_kernelILj162EiEvPT0_S1_i.private_seg_size, 0
	.set _Z21shuffle_offset_kernelILj162EiEvPT0_S1_i.uses_vcc, 0
	.set _Z21shuffle_offset_kernelILj162EiEvPT0_S1_i.uses_flat_scratch, 0
	.set _Z21shuffle_offset_kernelILj162EiEvPT0_S1_i.has_dyn_sized_stack, 0
	.set _Z21shuffle_offset_kernelILj162EiEvPT0_S1_i.has_recursion, 0
	.set _Z21shuffle_offset_kernelILj162EiEvPT0_S1_i.has_indirect_call, 0
	.section	.AMDGPU.csdata,"",@progbits
; Kernel info:
; codeLenInByte = 188
; TotalNumSgprs: 9
; NumVgprs: 5
; ScratchSize: 0
; MemoryBound: 0
; FloatMode: 240
; IeeeMode: 1
; LDSByteSize: 648 bytes/workgroup (compile time only)
; SGPRBlocks: 0
; VGPRBlocks: 0
; NumSGPRsForWavesPerEU: 9
; NumVGPRsForWavesPerEU: 5
; NamedBarCnt: 0
; Occupancy: 16
; WaveLimiterHint : 0
; COMPUTE_PGM_RSRC2:SCRATCH_EN: 0
; COMPUTE_PGM_RSRC2:USER_SGPR: 2
; COMPUTE_PGM_RSRC2:TRAP_HANDLER: 0
; COMPUTE_PGM_RSRC2:TGID_X_EN: 1
; COMPUTE_PGM_RSRC2:TGID_Y_EN: 0
; COMPUTE_PGM_RSRC2:TGID_Z_EN: 0
; COMPUTE_PGM_RSRC2:TIDIG_COMP_CNT: 0
	.section	.text._Z21shuffle_offset_kernelILj37EiEvPT0_S1_i,"axG",@progbits,_Z21shuffle_offset_kernelILj37EiEvPT0_S1_i,comdat
	.protected	_Z21shuffle_offset_kernelILj37EiEvPT0_S1_i ; -- Begin function _Z21shuffle_offset_kernelILj37EiEvPT0_S1_i
	.globl	_Z21shuffle_offset_kernelILj37EiEvPT0_S1_i
	.p2align	8
	.type	_Z21shuffle_offset_kernelILj37EiEvPT0_S1_i,@function
_Z21shuffle_offset_kernelILj37EiEvPT0_S1_i: ; @_Z21shuffle_offset_kernelILj37EiEvPT0_S1_i
; %bb.0:
	s_bfe_u32 s2, ttmp6, 0x4000c
	s_load_b128 s[4:7], s[0:1], 0x0
	s_add_co_i32 s2, s2, 1
	s_and_b32 s3, ttmp6, 15
	s_mul_i32 s2, ttmp9, s2
	s_getreg_b32 s8, hwreg(HW_REG_IB_STS2, 6, 4)
	s_add_co_i32 s3, s3, s2
	s_cmp_eq_u32 s8, 0
	s_wait_xcnt 0x0
	s_load_b32 s0, s[0:1], 0x10
	s_cselect_b32 s2, ttmp9, s3
	s_wait_xcnt 0x0
	s_mov_b32 s1, exec_lo
	v_mad_u32 v2, s2, 37, v0
	s_wait_kmcnt 0x0
	global_load_b32 v1, v2, s[4:5] scale_offset
	v_dual_add_nc_u32 v3, s0, v0 :: v_dual_lshlrev_b32 v0, 2, v0
	s_wait_loadcnt 0x0
	ds_store_b32 v0, v1
	s_wait_dscnt 0x0
	s_barrier_signal -1
	s_barrier_wait -1
	v_cmpx_gt_u32_e32 37, v3
	s_cbranch_execz .LBB11_2
; %bb.1:
	v_lshl_add_u32 v0, s0, 2, v0
	v_mov_b32_e32 v3, 0
	ds_load_b32 v4, v0
	v_lshl_add_u64 v[0:1], v[2:3], 2, s[6:7]
	s_wait_dscnt 0x0
	global_store_b32 v[0:1], v4, off
.LBB11_2:
	s_endpgm
	.section	.rodata,"a",@progbits
	.p2align	6, 0x0
	.amdhsa_kernel _Z21shuffle_offset_kernelILj37EiEvPT0_S1_i
		.amdhsa_group_segment_fixed_size 148
		.amdhsa_private_segment_fixed_size 0
		.amdhsa_kernarg_size 20
		.amdhsa_user_sgpr_count 2
		.amdhsa_user_sgpr_dispatch_ptr 0
		.amdhsa_user_sgpr_queue_ptr 0
		.amdhsa_user_sgpr_kernarg_segment_ptr 1
		.amdhsa_user_sgpr_dispatch_id 0
		.amdhsa_user_sgpr_kernarg_preload_length 0
		.amdhsa_user_sgpr_kernarg_preload_offset 0
		.amdhsa_user_sgpr_private_segment_size 0
		.amdhsa_wavefront_size32 1
		.amdhsa_uses_dynamic_stack 0
		.amdhsa_enable_private_segment 0
		.amdhsa_system_sgpr_workgroup_id_x 1
		.amdhsa_system_sgpr_workgroup_id_y 0
		.amdhsa_system_sgpr_workgroup_id_z 0
		.amdhsa_system_sgpr_workgroup_info 0
		.amdhsa_system_vgpr_workitem_id 0
		.amdhsa_next_free_vgpr 5
		.amdhsa_next_free_sgpr 9
		.amdhsa_named_barrier_count 0
		.amdhsa_reserve_vcc 0
		.amdhsa_float_round_mode_32 0
		.amdhsa_float_round_mode_16_64 0
		.amdhsa_float_denorm_mode_32 3
		.amdhsa_float_denorm_mode_16_64 3
		.amdhsa_fp16_overflow 0
		.amdhsa_memory_ordered 1
		.amdhsa_forward_progress 1
		.amdhsa_inst_pref_size 2
		.amdhsa_round_robin_scheduling 0
		.amdhsa_exception_fp_ieee_invalid_op 0
		.amdhsa_exception_fp_denorm_src 0
		.amdhsa_exception_fp_ieee_div_zero 0
		.amdhsa_exception_fp_ieee_overflow 0
		.amdhsa_exception_fp_ieee_underflow 0
		.amdhsa_exception_fp_ieee_inexact 0
		.amdhsa_exception_int_div_zero 0
	.end_amdhsa_kernel
	.section	.text._Z21shuffle_offset_kernelILj37EiEvPT0_S1_i,"axG",@progbits,_Z21shuffle_offset_kernelILj37EiEvPT0_S1_i,comdat
.Lfunc_end11:
	.size	_Z21shuffle_offset_kernelILj37EiEvPT0_S1_i, .Lfunc_end11-_Z21shuffle_offset_kernelILj37EiEvPT0_S1_i
                                        ; -- End function
	.set _Z21shuffle_offset_kernelILj37EiEvPT0_S1_i.num_vgpr, 5
	.set _Z21shuffle_offset_kernelILj37EiEvPT0_S1_i.num_agpr, 0
	.set _Z21shuffle_offset_kernelILj37EiEvPT0_S1_i.numbered_sgpr, 9
	.set _Z21shuffle_offset_kernelILj37EiEvPT0_S1_i.num_named_barrier, 0
	.set _Z21shuffle_offset_kernelILj37EiEvPT0_S1_i.private_seg_size, 0
	.set _Z21shuffle_offset_kernelILj37EiEvPT0_S1_i.uses_vcc, 0
	.set _Z21shuffle_offset_kernelILj37EiEvPT0_S1_i.uses_flat_scratch, 0
	.set _Z21shuffle_offset_kernelILj37EiEvPT0_S1_i.has_dyn_sized_stack, 0
	.set _Z21shuffle_offset_kernelILj37EiEvPT0_S1_i.has_recursion, 0
	.set _Z21shuffle_offset_kernelILj37EiEvPT0_S1_i.has_indirect_call, 0
	.section	.AMDGPU.csdata,"",@progbits
; Kernel info:
; codeLenInByte = 180
; TotalNumSgprs: 9
; NumVgprs: 5
; ScratchSize: 0
; MemoryBound: 0
; FloatMode: 240
; IeeeMode: 1
; LDSByteSize: 148 bytes/workgroup (compile time only)
; SGPRBlocks: 0
; VGPRBlocks: 0
; NumSGPRsForWavesPerEU: 9
; NumVGPRsForWavesPerEU: 5
; NamedBarCnt: 0
; Occupancy: 16
; WaveLimiterHint : 0
; COMPUTE_PGM_RSRC2:SCRATCH_EN: 0
; COMPUTE_PGM_RSRC2:USER_SGPR: 2
; COMPUTE_PGM_RSRC2:TRAP_HANDLER: 0
; COMPUTE_PGM_RSRC2:TGID_X_EN: 1
; COMPUTE_PGM_RSRC2:TGID_Y_EN: 0
; COMPUTE_PGM_RSRC2:TGID_Z_EN: 0
; COMPUTE_PGM_RSRC2:TIDIG_COMP_CNT: 0
	.section	.text._Z21shuffle_offset_kernelILj65EiEvPT0_S1_i,"axG",@progbits,_Z21shuffle_offset_kernelILj65EiEvPT0_S1_i,comdat
	.protected	_Z21shuffle_offset_kernelILj65EiEvPT0_S1_i ; -- Begin function _Z21shuffle_offset_kernelILj65EiEvPT0_S1_i
	.globl	_Z21shuffle_offset_kernelILj65EiEvPT0_S1_i
	.p2align	8
	.type	_Z21shuffle_offset_kernelILj65EiEvPT0_S1_i,@function
_Z21shuffle_offset_kernelILj65EiEvPT0_S1_i: ; @_Z21shuffle_offset_kernelILj65EiEvPT0_S1_i
; %bb.0:
	s_bfe_u32 s2, ttmp6, 0x4000c
	s_load_b128 s[4:7], s[0:1], 0x0
	s_add_co_i32 s2, s2, 1
	s_and_b32 s3, ttmp6, 15
	s_mul_i32 s2, ttmp9, s2
	s_getreg_b32 s8, hwreg(HW_REG_IB_STS2, 6, 4)
	s_add_co_i32 s3, s3, s2
	s_cmp_eq_u32 s8, 0
	s_wait_xcnt 0x0
	s_load_b32 s0, s[0:1], 0x10
	s_cselect_b32 s2, ttmp9, s3
	s_wait_xcnt 0x0
	s_mov_b32 s1, exec_lo
	v_mad_u32 v2, 0x41, s2, v0
	s_wait_kmcnt 0x0
	global_load_b32 v1, v2, s[4:5] scale_offset
	v_dual_add_nc_u32 v3, s0, v0 :: v_dual_lshlrev_b32 v0, 2, v0
	s_wait_loadcnt 0x0
	ds_store_b32 v0, v1
	s_wait_dscnt 0x0
	s_barrier_signal -1
	s_barrier_wait -1
	v_cmpx_gt_u32_e32 0x41, v3
	s_cbranch_execz .LBB12_2
; %bb.1:
	v_lshl_add_u32 v0, s0, 2, v0
	v_mov_b32_e32 v3, 0
	ds_load_b32 v4, v0
	v_lshl_add_u64 v[0:1], v[2:3], 2, s[6:7]
	s_wait_dscnt 0x0
	global_store_b32 v[0:1], v4, off
.LBB12_2:
	s_endpgm
	.section	.rodata,"a",@progbits
	.p2align	6, 0x0
	.amdhsa_kernel _Z21shuffle_offset_kernelILj65EiEvPT0_S1_i
		.amdhsa_group_segment_fixed_size 260
		.amdhsa_private_segment_fixed_size 0
		.amdhsa_kernarg_size 20
		.amdhsa_user_sgpr_count 2
		.amdhsa_user_sgpr_dispatch_ptr 0
		.amdhsa_user_sgpr_queue_ptr 0
		.amdhsa_user_sgpr_kernarg_segment_ptr 1
		.amdhsa_user_sgpr_dispatch_id 0
		.amdhsa_user_sgpr_kernarg_preload_length 0
		.amdhsa_user_sgpr_kernarg_preload_offset 0
		.amdhsa_user_sgpr_private_segment_size 0
		.amdhsa_wavefront_size32 1
		.amdhsa_uses_dynamic_stack 0
		.amdhsa_enable_private_segment 0
		.amdhsa_system_sgpr_workgroup_id_x 1
		.amdhsa_system_sgpr_workgroup_id_y 0
		.amdhsa_system_sgpr_workgroup_id_z 0
		.amdhsa_system_sgpr_workgroup_info 0
		.amdhsa_system_vgpr_workitem_id 0
		.amdhsa_next_free_vgpr 5
		.amdhsa_next_free_sgpr 9
		.amdhsa_named_barrier_count 0
		.amdhsa_reserve_vcc 0
		.amdhsa_float_round_mode_32 0
		.amdhsa_float_round_mode_16_64 0
		.amdhsa_float_denorm_mode_32 3
		.amdhsa_float_denorm_mode_16_64 3
		.amdhsa_fp16_overflow 0
		.amdhsa_memory_ordered 1
		.amdhsa_forward_progress 1
		.amdhsa_inst_pref_size 2
		.amdhsa_round_robin_scheduling 0
		.amdhsa_exception_fp_ieee_invalid_op 0
		.amdhsa_exception_fp_denorm_src 0
		.amdhsa_exception_fp_ieee_div_zero 0
		.amdhsa_exception_fp_ieee_overflow 0
		.amdhsa_exception_fp_ieee_underflow 0
		.amdhsa_exception_fp_ieee_inexact 0
		.amdhsa_exception_int_div_zero 0
	.end_amdhsa_kernel
	.section	.text._Z21shuffle_offset_kernelILj65EiEvPT0_S1_i,"axG",@progbits,_Z21shuffle_offset_kernelILj65EiEvPT0_S1_i,comdat
.Lfunc_end12:
	.size	_Z21shuffle_offset_kernelILj65EiEvPT0_S1_i, .Lfunc_end12-_Z21shuffle_offset_kernelILj65EiEvPT0_S1_i
                                        ; -- End function
	.set _Z21shuffle_offset_kernelILj65EiEvPT0_S1_i.num_vgpr, 5
	.set _Z21shuffle_offset_kernelILj65EiEvPT0_S1_i.num_agpr, 0
	.set _Z21shuffle_offset_kernelILj65EiEvPT0_S1_i.numbered_sgpr, 9
	.set _Z21shuffle_offset_kernelILj65EiEvPT0_S1_i.num_named_barrier, 0
	.set _Z21shuffle_offset_kernelILj65EiEvPT0_S1_i.private_seg_size, 0
	.set _Z21shuffle_offset_kernelILj65EiEvPT0_S1_i.uses_vcc, 0
	.set _Z21shuffle_offset_kernelILj65EiEvPT0_S1_i.uses_flat_scratch, 0
	.set _Z21shuffle_offset_kernelILj65EiEvPT0_S1_i.has_dyn_sized_stack, 0
	.set _Z21shuffle_offset_kernelILj65EiEvPT0_S1_i.has_recursion, 0
	.set _Z21shuffle_offset_kernelILj65EiEvPT0_S1_i.has_indirect_call, 0
	.section	.AMDGPU.csdata,"",@progbits
; Kernel info:
; codeLenInByte = 188
; TotalNumSgprs: 9
; NumVgprs: 5
; ScratchSize: 0
; MemoryBound: 0
; FloatMode: 240
; IeeeMode: 1
; LDSByteSize: 260 bytes/workgroup (compile time only)
; SGPRBlocks: 0
; VGPRBlocks: 0
; NumSGPRsForWavesPerEU: 9
; NumVGPRsForWavesPerEU: 5
; NamedBarCnt: 0
; Occupancy: 16
; WaveLimiterHint : 0
; COMPUTE_PGM_RSRC2:SCRATCH_EN: 0
; COMPUTE_PGM_RSRC2:USER_SGPR: 2
; COMPUTE_PGM_RSRC2:TRAP_HANDLER: 0
; COMPUTE_PGM_RSRC2:TGID_X_EN: 1
; COMPUTE_PGM_RSRC2:TGID_Y_EN: 0
; COMPUTE_PGM_RSRC2:TGID_Z_EN: 0
; COMPUTE_PGM_RSRC2:TIDIG_COMP_CNT: 0
	.section	.text._Z21shuffle_offset_kernelILj512EiEvPT0_S1_i,"axG",@progbits,_Z21shuffle_offset_kernelILj512EiEvPT0_S1_i,comdat
	.protected	_Z21shuffle_offset_kernelILj512EiEvPT0_S1_i ; -- Begin function _Z21shuffle_offset_kernelILj512EiEvPT0_S1_i
	.globl	_Z21shuffle_offset_kernelILj512EiEvPT0_S1_i
	.p2align	8
	.type	_Z21shuffle_offset_kernelILj512EiEvPT0_S1_i,@function
_Z21shuffle_offset_kernelILj512EiEvPT0_S1_i: ; @_Z21shuffle_offset_kernelILj512EiEvPT0_S1_i
; %bb.0:
	s_load_b128 s[4:7], s[0:1], 0x0
	s_bfe_u32 s2, ttmp6, 0x4000c
	s_and_b32 s3, ttmp6, 15
	s_add_co_i32 s2, s2, 1
	s_getreg_b32 s8, hwreg(HW_REG_IB_STS2, 6, 4)
	s_mul_i32 s2, ttmp9, s2
	s_wait_xcnt 0x0
	s_load_b32 s0, s[0:1], 0x10
	s_add_co_i32 s3, s3, s2
	s_cmp_eq_u32 s8, 0
	s_wait_xcnt 0x0
	s_mov_b32 s1, exec_lo
	s_cselect_b32 s2, ttmp9, s3
	s_delay_alu instid0(SALU_CYCLE_1)
	v_lshl_or_b32 v2, s2, 9, v0
	s_wait_kmcnt 0x0
	global_load_b32 v1, v2, s[4:5] scale_offset
	v_dual_add_nc_u32 v3, s0, v0 :: v_dual_lshlrev_b32 v0, 2, v0
	s_wait_loadcnt 0x0
	ds_store_b32 v0, v1
	s_wait_dscnt 0x0
	s_barrier_signal -1
	s_barrier_wait -1
	v_cmpx_gt_u32_e32 0x200, v3
	s_cbranch_execz .LBB13_2
; %bb.1:
	v_lshl_add_u32 v0, s0, 2, v0
	v_mov_b32_e32 v3, 0
	ds_load_b32 v4, v0
	v_lshl_add_u64 v[0:1], v[2:3], 2, s[6:7]
	s_wait_dscnt 0x0
	global_store_b32 v[0:1], v4, off
.LBB13_2:
	s_endpgm
	.section	.rodata,"a",@progbits
	.p2align	6, 0x0
	.amdhsa_kernel _Z21shuffle_offset_kernelILj512EiEvPT0_S1_i
		.amdhsa_group_segment_fixed_size 2048
		.amdhsa_private_segment_fixed_size 0
		.amdhsa_kernarg_size 20
		.amdhsa_user_sgpr_count 2
		.amdhsa_user_sgpr_dispatch_ptr 0
		.amdhsa_user_sgpr_queue_ptr 0
		.amdhsa_user_sgpr_kernarg_segment_ptr 1
		.amdhsa_user_sgpr_dispatch_id 0
		.amdhsa_user_sgpr_kernarg_preload_length 0
		.amdhsa_user_sgpr_kernarg_preload_offset 0
		.amdhsa_user_sgpr_private_segment_size 0
		.amdhsa_wavefront_size32 1
		.amdhsa_uses_dynamic_stack 0
		.amdhsa_enable_private_segment 0
		.amdhsa_system_sgpr_workgroup_id_x 1
		.amdhsa_system_sgpr_workgroup_id_y 0
		.amdhsa_system_sgpr_workgroup_id_z 0
		.amdhsa_system_sgpr_workgroup_info 0
		.amdhsa_system_vgpr_workitem_id 0
		.amdhsa_next_free_vgpr 5
		.amdhsa_next_free_sgpr 9
		.amdhsa_named_barrier_count 0
		.amdhsa_reserve_vcc 0
		.amdhsa_float_round_mode_32 0
		.amdhsa_float_round_mode_16_64 0
		.amdhsa_float_denorm_mode_32 3
		.amdhsa_float_denorm_mode_16_64 3
		.amdhsa_fp16_overflow 0
		.amdhsa_memory_ordered 1
		.amdhsa_forward_progress 1
		.amdhsa_inst_pref_size 2
		.amdhsa_round_robin_scheduling 0
		.amdhsa_exception_fp_ieee_invalid_op 0
		.amdhsa_exception_fp_denorm_src 0
		.amdhsa_exception_fp_ieee_div_zero 0
		.amdhsa_exception_fp_ieee_overflow 0
		.amdhsa_exception_fp_ieee_underflow 0
		.amdhsa_exception_fp_ieee_inexact 0
		.amdhsa_exception_int_div_zero 0
	.end_amdhsa_kernel
	.section	.text._Z21shuffle_offset_kernelILj512EiEvPT0_S1_i,"axG",@progbits,_Z21shuffle_offset_kernelILj512EiEvPT0_S1_i,comdat
.Lfunc_end13:
	.size	_Z21shuffle_offset_kernelILj512EiEvPT0_S1_i, .Lfunc_end13-_Z21shuffle_offset_kernelILj512EiEvPT0_S1_i
                                        ; -- End function
	.set _Z21shuffle_offset_kernelILj512EiEvPT0_S1_i.num_vgpr, 5
	.set _Z21shuffle_offset_kernelILj512EiEvPT0_S1_i.num_agpr, 0
	.set _Z21shuffle_offset_kernelILj512EiEvPT0_S1_i.numbered_sgpr, 9
	.set _Z21shuffle_offset_kernelILj512EiEvPT0_S1_i.num_named_barrier, 0
	.set _Z21shuffle_offset_kernelILj512EiEvPT0_S1_i.private_seg_size, 0
	.set _Z21shuffle_offset_kernelILj512EiEvPT0_S1_i.uses_vcc, 0
	.set _Z21shuffle_offset_kernelILj512EiEvPT0_S1_i.uses_flat_scratch, 0
	.set _Z21shuffle_offset_kernelILj512EiEvPT0_S1_i.has_dyn_sized_stack, 0
	.set _Z21shuffle_offset_kernelILj512EiEvPT0_S1_i.has_recursion, 0
	.set _Z21shuffle_offset_kernelILj512EiEvPT0_S1_i.has_indirect_call, 0
	.section	.AMDGPU.csdata,"",@progbits
; Kernel info:
; codeLenInByte = 188
; TotalNumSgprs: 9
; NumVgprs: 5
; ScratchSize: 0
; MemoryBound: 0
; FloatMode: 240
; IeeeMode: 1
; LDSByteSize: 2048 bytes/workgroup (compile time only)
; SGPRBlocks: 0
; VGPRBlocks: 0
; NumSGPRsForWavesPerEU: 9
; NumVGPRsForWavesPerEU: 5
; NamedBarCnt: 0
; Occupancy: 16
; WaveLimiterHint : 0
; COMPUTE_PGM_RSRC2:SCRATCH_EN: 0
; COMPUTE_PGM_RSRC2:USER_SGPR: 2
; COMPUTE_PGM_RSRC2:TRAP_HANDLER: 0
; COMPUTE_PGM_RSRC2:TGID_X_EN: 1
; COMPUTE_PGM_RSRC2:TGID_Y_EN: 0
; COMPUTE_PGM_RSRC2:TGID_Z_EN: 0
; COMPUTE_PGM_RSRC2:TIDIG_COMP_CNT: 0
	.section	.text._Z21shuffle_offset_kernelILj256EiEvPT0_S1_i,"axG",@progbits,_Z21shuffle_offset_kernelILj256EiEvPT0_S1_i,comdat
	.protected	_Z21shuffle_offset_kernelILj256EiEvPT0_S1_i ; -- Begin function _Z21shuffle_offset_kernelILj256EiEvPT0_S1_i
	.globl	_Z21shuffle_offset_kernelILj256EiEvPT0_S1_i
	.p2align	8
	.type	_Z21shuffle_offset_kernelILj256EiEvPT0_S1_i,@function
_Z21shuffle_offset_kernelILj256EiEvPT0_S1_i: ; @_Z21shuffle_offset_kernelILj256EiEvPT0_S1_i
; %bb.0:
	s_load_b128 s[4:7], s[0:1], 0x0
	s_bfe_u32 s2, ttmp6, 0x4000c
	s_and_b32 s3, ttmp6, 15
	s_add_co_i32 s2, s2, 1
	s_getreg_b32 s8, hwreg(HW_REG_IB_STS2, 6, 4)
	s_mul_i32 s2, ttmp9, s2
	s_wait_xcnt 0x0
	s_load_b32 s0, s[0:1], 0x10
	s_add_co_i32 s3, s3, s2
	s_cmp_eq_u32 s8, 0
	s_wait_xcnt 0x0
	s_mov_b32 s1, exec_lo
	s_cselect_b32 s2, ttmp9, s3
	s_delay_alu instid0(SALU_CYCLE_1)
	v_lshl_or_b32 v2, s2, 8, v0
	s_wait_kmcnt 0x0
	global_load_b32 v1, v2, s[4:5] scale_offset
	v_dual_add_nc_u32 v3, s0, v0 :: v_dual_lshlrev_b32 v0, 2, v0
	s_wait_loadcnt 0x0
	ds_store_b32 v0, v1
	s_wait_dscnt 0x0
	s_barrier_signal -1
	s_barrier_wait -1
	v_cmpx_gt_u32_e32 0x100, v3
	s_cbranch_execz .LBB14_2
; %bb.1:
	v_lshl_add_u32 v0, s0, 2, v0
	v_mov_b32_e32 v3, 0
	ds_load_b32 v4, v0
	v_lshl_add_u64 v[0:1], v[2:3], 2, s[6:7]
	s_wait_dscnt 0x0
	global_store_b32 v[0:1], v4, off
.LBB14_2:
	s_endpgm
	.section	.rodata,"a",@progbits
	.p2align	6, 0x0
	.amdhsa_kernel _Z21shuffle_offset_kernelILj256EiEvPT0_S1_i
		.amdhsa_group_segment_fixed_size 1024
		.amdhsa_private_segment_fixed_size 0
		.amdhsa_kernarg_size 20
		.amdhsa_user_sgpr_count 2
		.amdhsa_user_sgpr_dispatch_ptr 0
		.amdhsa_user_sgpr_queue_ptr 0
		.amdhsa_user_sgpr_kernarg_segment_ptr 1
		.amdhsa_user_sgpr_dispatch_id 0
		.amdhsa_user_sgpr_kernarg_preload_length 0
		.amdhsa_user_sgpr_kernarg_preload_offset 0
		.amdhsa_user_sgpr_private_segment_size 0
		.amdhsa_wavefront_size32 1
		.amdhsa_uses_dynamic_stack 0
		.amdhsa_enable_private_segment 0
		.amdhsa_system_sgpr_workgroup_id_x 1
		.amdhsa_system_sgpr_workgroup_id_y 0
		.amdhsa_system_sgpr_workgroup_id_z 0
		.amdhsa_system_sgpr_workgroup_info 0
		.amdhsa_system_vgpr_workitem_id 0
		.amdhsa_next_free_vgpr 5
		.amdhsa_next_free_sgpr 9
		.amdhsa_named_barrier_count 0
		.amdhsa_reserve_vcc 0
		.amdhsa_float_round_mode_32 0
		.amdhsa_float_round_mode_16_64 0
		.amdhsa_float_denorm_mode_32 3
		.amdhsa_float_denorm_mode_16_64 3
		.amdhsa_fp16_overflow 0
		.amdhsa_memory_ordered 1
		.amdhsa_forward_progress 1
		.amdhsa_inst_pref_size 2
		.amdhsa_round_robin_scheduling 0
		.amdhsa_exception_fp_ieee_invalid_op 0
		.amdhsa_exception_fp_denorm_src 0
		.amdhsa_exception_fp_ieee_div_zero 0
		.amdhsa_exception_fp_ieee_overflow 0
		.amdhsa_exception_fp_ieee_underflow 0
		.amdhsa_exception_fp_ieee_inexact 0
		.amdhsa_exception_int_div_zero 0
	.end_amdhsa_kernel
	.section	.text._Z21shuffle_offset_kernelILj256EiEvPT0_S1_i,"axG",@progbits,_Z21shuffle_offset_kernelILj256EiEvPT0_S1_i,comdat
.Lfunc_end14:
	.size	_Z21shuffle_offset_kernelILj256EiEvPT0_S1_i, .Lfunc_end14-_Z21shuffle_offset_kernelILj256EiEvPT0_S1_i
                                        ; -- End function
	.set _Z21shuffle_offset_kernelILj256EiEvPT0_S1_i.num_vgpr, 5
	.set _Z21shuffle_offset_kernelILj256EiEvPT0_S1_i.num_agpr, 0
	.set _Z21shuffle_offset_kernelILj256EiEvPT0_S1_i.numbered_sgpr, 9
	.set _Z21shuffle_offset_kernelILj256EiEvPT0_S1_i.num_named_barrier, 0
	.set _Z21shuffle_offset_kernelILj256EiEvPT0_S1_i.private_seg_size, 0
	.set _Z21shuffle_offset_kernelILj256EiEvPT0_S1_i.uses_vcc, 0
	.set _Z21shuffle_offset_kernelILj256EiEvPT0_S1_i.uses_flat_scratch, 0
	.set _Z21shuffle_offset_kernelILj256EiEvPT0_S1_i.has_dyn_sized_stack, 0
	.set _Z21shuffle_offset_kernelILj256EiEvPT0_S1_i.has_recursion, 0
	.set _Z21shuffle_offset_kernelILj256EiEvPT0_S1_i.has_indirect_call, 0
	.section	.AMDGPU.csdata,"",@progbits
; Kernel info:
; codeLenInByte = 188
; TotalNumSgprs: 9
; NumVgprs: 5
; ScratchSize: 0
; MemoryBound: 0
; FloatMode: 240
; IeeeMode: 1
; LDSByteSize: 1024 bytes/workgroup (compile time only)
; SGPRBlocks: 0
; VGPRBlocks: 0
; NumSGPRsForWavesPerEU: 9
; NumVGPRsForWavesPerEU: 5
; NamedBarCnt: 0
; Occupancy: 16
; WaveLimiterHint : 0
; COMPUTE_PGM_RSRC2:SCRATCH_EN: 0
; COMPUTE_PGM_RSRC2:USER_SGPR: 2
; COMPUTE_PGM_RSRC2:TRAP_HANDLER: 0
; COMPUTE_PGM_RSRC2:TGID_X_EN: 1
; COMPUTE_PGM_RSRC2:TGID_Y_EN: 0
; COMPUTE_PGM_RSRC2:TGID_Z_EN: 0
; COMPUTE_PGM_RSRC2:TIDIG_COMP_CNT: 0
	.section	.text._Z21shuffle_offset_kernelILj128EiEvPT0_S1_i,"axG",@progbits,_Z21shuffle_offset_kernelILj128EiEvPT0_S1_i,comdat
	.protected	_Z21shuffle_offset_kernelILj128EiEvPT0_S1_i ; -- Begin function _Z21shuffle_offset_kernelILj128EiEvPT0_S1_i
	.globl	_Z21shuffle_offset_kernelILj128EiEvPT0_S1_i
	.p2align	8
	.type	_Z21shuffle_offset_kernelILj128EiEvPT0_S1_i,@function
_Z21shuffle_offset_kernelILj128EiEvPT0_S1_i: ; @_Z21shuffle_offset_kernelILj128EiEvPT0_S1_i
; %bb.0:
	s_load_b128 s[4:7], s[0:1], 0x0
	s_bfe_u32 s2, ttmp6, 0x4000c
	s_and_b32 s3, ttmp6, 15
	s_add_co_i32 s2, s2, 1
	s_getreg_b32 s8, hwreg(HW_REG_IB_STS2, 6, 4)
	s_mul_i32 s2, ttmp9, s2
	s_wait_xcnt 0x0
	s_load_b32 s0, s[0:1], 0x10
	s_add_co_i32 s3, s3, s2
	s_cmp_eq_u32 s8, 0
	s_wait_xcnt 0x0
	s_mov_b32 s1, exec_lo
	s_cselect_b32 s2, ttmp9, s3
	s_delay_alu instid0(SALU_CYCLE_1)
	v_lshl_or_b32 v2, s2, 7, v0
	s_wait_kmcnt 0x0
	global_load_b32 v1, v2, s[4:5] scale_offset
	v_dual_add_nc_u32 v3, s0, v0 :: v_dual_lshlrev_b32 v0, 2, v0
	s_wait_loadcnt 0x0
	ds_store_b32 v0, v1
	s_wait_dscnt 0x0
	s_barrier_signal -1
	s_barrier_wait -1
	v_cmpx_gt_u32_e32 0x80, v3
	s_cbranch_execz .LBB15_2
; %bb.1:
	v_lshl_add_u32 v0, s0, 2, v0
	v_mov_b32_e32 v3, 0
	ds_load_b32 v4, v0
	v_lshl_add_u64 v[0:1], v[2:3], 2, s[6:7]
	s_wait_dscnt 0x0
	global_store_b32 v[0:1], v4, off
.LBB15_2:
	s_endpgm
	.section	.rodata,"a",@progbits
	.p2align	6, 0x0
	.amdhsa_kernel _Z21shuffle_offset_kernelILj128EiEvPT0_S1_i
		.amdhsa_group_segment_fixed_size 512
		.amdhsa_private_segment_fixed_size 0
		.amdhsa_kernarg_size 20
		.amdhsa_user_sgpr_count 2
		.amdhsa_user_sgpr_dispatch_ptr 0
		.amdhsa_user_sgpr_queue_ptr 0
		.amdhsa_user_sgpr_kernarg_segment_ptr 1
		.amdhsa_user_sgpr_dispatch_id 0
		.amdhsa_user_sgpr_kernarg_preload_length 0
		.amdhsa_user_sgpr_kernarg_preload_offset 0
		.amdhsa_user_sgpr_private_segment_size 0
		.amdhsa_wavefront_size32 1
		.amdhsa_uses_dynamic_stack 0
		.amdhsa_enable_private_segment 0
		.amdhsa_system_sgpr_workgroup_id_x 1
		.amdhsa_system_sgpr_workgroup_id_y 0
		.amdhsa_system_sgpr_workgroup_id_z 0
		.amdhsa_system_sgpr_workgroup_info 0
		.amdhsa_system_vgpr_workitem_id 0
		.amdhsa_next_free_vgpr 5
		.amdhsa_next_free_sgpr 9
		.amdhsa_named_barrier_count 0
		.amdhsa_reserve_vcc 0
		.amdhsa_float_round_mode_32 0
		.amdhsa_float_round_mode_16_64 0
		.amdhsa_float_denorm_mode_32 3
		.amdhsa_float_denorm_mode_16_64 3
		.amdhsa_fp16_overflow 0
		.amdhsa_memory_ordered 1
		.amdhsa_forward_progress 1
		.amdhsa_inst_pref_size 2
		.amdhsa_round_robin_scheduling 0
		.amdhsa_exception_fp_ieee_invalid_op 0
		.amdhsa_exception_fp_denorm_src 0
		.amdhsa_exception_fp_ieee_div_zero 0
		.amdhsa_exception_fp_ieee_overflow 0
		.amdhsa_exception_fp_ieee_underflow 0
		.amdhsa_exception_fp_ieee_inexact 0
		.amdhsa_exception_int_div_zero 0
	.end_amdhsa_kernel
	.section	.text._Z21shuffle_offset_kernelILj128EiEvPT0_S1_i,"axG",@progbits,_Z21shuffle_offset_kernelILj128EiEvPT0_S1_i,comdat
.Lfunc_end15:
	.size	_Z21shuffle_offset_kernelILj128EiEvPT0_S1_i, .Lfunc_end15-_Z21shuffle_offset_kernelILj128EiEvPT0_S1_i
                                        ; -- End function
	.set _Z21shuffle_offset_kernelILj128EiEvPT0_S1_i.num_vgpr, 5
	.set _Z21shuffle_offset_kernelILj128EiEvPT0_S1_i.num_agpr, 0
	.set _Z21shuffle_offset_kernelILj128EiEvPT0_S1_i.numbered_sgpr, 9
	.set _Z21shuffle_offset_kernelILj128EiEvPT0_S1_i.num_named_barrier, 0
	.set _Z21shuffle_offset_kernelILj128EiEvPT0_S1_i.private_seg_size, 0
	.set _Z21shuffle_offset_kernelILj128EiEvPT0_S1_i.uses_vcc, 0
	.set _Z21shuffle_offset_kernelILj128EiEvPT0_S1_i.uses_flat_scratch, 0
	.set _Z21shuffle_offset_kernelILj128EiEvPT0_S1_i.has_dyn_sized_stack, 0
	.set _Z21shuffle_offset_kernelILj128EiEvPT0_S1_i.has_recursion, 0
	.set _Z21shuffle_offset_kernelILj128EiEvPT0_S1_i.has_indirect_call, 0
	.section	.AMDGPU.csdata,"",@progbits
; Kernel info:
; codeLenInByte = 188
; TotalNumSgprs: 9
; NumVgprs: 5
; ScratchSize: 0
; MemoryBound: 0
; FloatMode: 240
; IeeeMode: 1
; LDSByteSize: 512 bytes/workgroup (compile time only)
; SGPRBlocks: 0
; VGPRBlocks: 0
; NumSGPRsForWavesPerEU: 9
; NumVGPRsForWavesPerEU: 5
; NamedBarCnt: 0
; Occupancy: 16
; WaveLimiterHint : 0
; COMPUTE_PGM_RSRC2:SCRATCH_EN: 0
; COMPUTE_PGM_RSRC2:USER_SGPR: 2
; COMPUTE_PGM_RSRC2:TRAP_HANDLER: 0
; COMPUTE_PGM_RSRC2:TGID_X_EN: 1
; COMPUTE_PGM_RSRC2:TGID_Y_EN: 0
; COMPUTE_PGM_RSRC2:TGID_Z_EN: 0
; COMPUTE_PGM_RSRC2:TIDIG_COMP_CNT: 0
	.section	.text._Z21shuffle_offset_kernelILj64EiEvPT0_S1_i,"axG",@progbits,_Z21shuffle_offset_kernelILj64EiEvPT0_S1_i,comdat
	.protected	_Z21shuffle_offset_kernelILj64EiEvPT0_S1_i ; -- Begin function _Z21shuffle_offset_kernelILj64EiEvPT0_S1_i
	.globl	_Z21shuffle_offset_kernelILj64EiEvPT0_S1_i
	.p2align	8
	.type	_Z21shuffle_offset_kernelILj64EiEvPT0_S1_i,@function
_Z21shuffle_offset_kernelILj64EiEvPT0_S1_i: ; @_Z21shuffle_offset_kernelILj64EiEvPT0_S1_i
; %bb.0:
	s_load_b128 s[4:7], s[0:1], 0x0
	s_bfe_u32 s2, ttmp6, 0x4000c
	s_and_b32 s3, ttmp6, 15
	s_add_co_i32 s2, s2, 1
	s_getreg_b32 s8, hwreg(HW_REG_IB_STS2, 6, 4)
	s_mul_i32 s2, ttmp9, s2
	s_wait_xcnt 0x0
	s_load_b32 s0, s[0:1], 0x10
	s_add_co_i32 s3, s3, s2
	s_cmp_eq_u32 s8, 0
	s_wait_xcnt 0x0
	s_mov_b32 s1, exec_lo
	s_cselect_b32 s2, ttmp9, s3
	s_delay_alu instid0(SALU_CYCLE_1)
	v_lshl_or_b32 v2, s2, 6, v0
	s_wait_kmcnt 0x0
	global_load_b32 v1, v2, s[4:5] scale_offset
	v_dual_add_nc_u32 v3, s0, v0 :: v_dual_lshlrev_b32 v0, 2, v0
	s_wait_loadcnt 0x0
	ds_store_b32 v0, v1
	s_wait_dscnt 0x0
	s_barrier_signal -1
	s_barrier_wait -1
	v_cmpx_gt_u32_e32 64, v3
	s_cbranch_execz .LBB16_2
; %bb.1:
	v_lshl_add_u32 v0, s0, 2, v0
	v_mov_b32_e32 v3, 0
	ds_load_b32 v4, v0
	v_lshl_add_u64 v[0:1], v[2:3], 2, s[6:7]
	s_wait_dscnt 0x0
	global_store_b32 v[0:1], v4, off
.LBB16_2:
	s_endpgm
	.section	.rodata,"a",@progbits
	.p2align	6, 0x0
	.amdhsa_kernel _Z21shuffle_offset_kernelILj64EiEvPT0_S1_i
		.amdhsa_group_segment_fixed_size 256
		.amdhsa_private_segment_fixed_size 0
		.amdhsa_kernarg_size 20
		.amdhsa_user_sgpr_count 2
		.amdhsa_user_sgpr_dispatch_ptr 0
		.amdhsa_user_sgpr_queue_ptr 0
		.amdhsa_user_sgpr_kernarg_segment_ptr 1
		.amdhsa_user_sgpr_dispatch_id 0
		.amdhsa_user_sgpr_kernarg_preload_length 0
		.amdhsa_user_sgpr_kernarg_preload_offset 0
		.amdhsa_user_sgpr_private_segment_size 0
		.amdhsa_wavefront_size32 1
		.amdhsa_uses_dynamic_stack 0
		.amdhsa_enable_private_segment 0
		.amdhsa_system_sgpr_workgroup_id_x 1
		.amdhsa_system_sgpr_workgroup_id_y 0
		.amdhsa_system_sgpr_workgroup_id_z 0
		.amdhsa_system_sgpr_workgroup_info 0
		.amdhsa_system_vgpr_workitem_id 0
		.amdhsa_next_free_vgpr 5
		.amdhsa_next_free_sgpr 9
		.amdhsa_named_barrier_count 0
		.amdhsa_reserve_vcc 0
		.amdhsa_float_round_mode_32 0
		.amdhsa_float_round_mode_16_64 0
		.amdhsa_float_denorm_mode_32 3
		.amdhsa_float_denorm_mode_16_64 3
		.amdhsa_fp16_overflow 0
		.amdhsa_memory_ordered 1
		.amdhsa_forward_progress 1
		.amdhsa_inst_pref_size 2
		.amdhsa_round_robin_scheduling 0
		.amdhsa_exception_fp_ieee_invalid_op 0
		.amdhsa_exception_fp_denorm_src 0
		.amdhsa_exception_fp_ieee_div_zero 0
		.amdhsa_exception_fp_ieee_overflow 0
		.amdhsa_exception_fp_ieee_underflow 0
		.amdhsa_exception_fp_ieee_inexact 0
		.amdhsa_exception_int_div_zero 0
	.end_amdhsa_kernel
	.section	.text._Z21shuffle_offset_kernelILj64EiEvPT0_S1_i,"axG",@progbits,_Z21shuffle_offset_kernelILj64EiEvPT0_S1_i,comdat
.Lfunc_end16:
	.size	_Z21shuffle_offset_kernelILj64EiEvPT0_S1_i, .Lfunc_end16-_Z21shuffle_offset_kernelILj64EiEvPT0_S1_i
                                        ; -- End function
	.set _Z21shuffle_offset_kernelILj64EiEvPT0_S1_i.num_vgpr, 5
	.set _Z21shuffle_offset_kernelILj64EiEvPT0_S1_i.num_agpr, 0
	.set _Z21shuffle_offset_kernelILj64EiEvPT0_S1_i.numbered_sgpr, 9
	.set _Z21shuffle_offset_kernelILj64EiEvPT0_S1_i.num_named_barrier, 0
	.set _Z21shuffle_offset_kernelILj64EiEvPT0_S1_i.private_seg_size, 0
	.set _Z21shuffle_offset_kernelILj64EiEvPT0_S1_i.uses_vcc, 0
	.set _Z21shuffle_offset_kernelILj64EiEvPT0_S1_i.uses_flat_scratch, 0
	.set _Z21shuffle_offset_kernelILj64EiEvPT0_S1_i.has_dyn_sized_stack, 0
	.set _Z21shuffle_offset_kernelILj64EiEvPT0_S1_i.has_recursion, 0
	.set _Z21shuffle_offset_kernelILj64EiEvPT0_S1_i.has_indirect_call, 0
	.section	.AMDGPU.csdata,"",@progbits
; Kernel info:
; codeLenInByte = 184
; TotalNumSgprs: 9
; NumVgprs: 5
; ScratchSize: 0
; MemoryBound: 0
; FloatMode: 240
; IeeeMode: 1
; LDSByteSize: 256 bytes/workgroup (compile time only)
; SGPRBlocks: 0
; VGPRBlocks: 0
; NumSGPRsForWavesPerEU: 9
; NumVGPRsForWavesPerEU: 5
; NamedBarCnt: 0
; Occupancy: 16
; WaveLimiterHint : 0
; COMPUTE_PGM_RSRC2:SCRATCH_EN: 0
; COMPUTE_PGM_RSRC2:USER_SGPR: 2
; COMPUTE_PGM_RSRC2:TRAP_HANDLER: 0
; COMPUTE_PGM_RSRC2:TGID_X_EN: 1
; COMPUTE_PGM_RSRC2:TGID_Y_EN: 0
; COMPUTE_PGM_RSRC2:TGID_Z_EN: 0
; COMPUTE_PGM_RSRC2:TIDIG_COMP_CNT: 0
	.section	.text._Z21shuffle_rotate_kernelILj32E12hip_bfloat16EvPT0_S2_i,"axG",@progbits,_Z21shuffle_rotate_kernelILj32E12hip_bfloat16EvPT0_S2_i,comdat
	.protected	_Z21shuffle_rotate_kernelILj32E12hip_bfloat16EvPT0_S2_i ; -- Begin function _Z21shuffle_rotate_kernelILj32E12hip_bfloat16EvPT0_S2_i
	.globl	_Z21shuffle_rotate_kernelILj32E12hip_bfloat16EvPT0_S2_i
	.p2align	8
	.type	_Z21shuffle_rotate_kernelILj32E12hip_bfloat16EvPT0_S2_i,@function
_Z21shuffle_rotate_kernelILj32E12hip_bfloat16EvPT0_S2_i: ; @_Z21shuffle_rotate_kernelILj32E12hip_bfloat16EvPT0_S2_i
; %bb.0:
	s_load_b128 s[4:7], s[0:1], 0x0
	s_bfe_u32 s2, ttmp6, 0x4000c
	s_and_b32 s3, ttmp6, 15
	s_add_co_i32 s2, s2, 1
	s_getreg_b32 s8, hwreg(HW_REG_IB_STS2, 6, 4)
	s_mul_i32 s2, ttmp9, s2
	s_wait_xcnt 0x0
	s_load_b32 s0, s[0:1], 0x10
	s_add_co_i32 s3, s3, s2
	s_cmp_eq_u32 s8, 0
	s_cselect_b32 s2, ttmp9, s3
	s_delay_alu instid0(SALU_CYCLE_1) | instskip(SKIP_4) | instid1(VALU_DEP_1)
	v_lshl_or_b32 v1, s2, 5, v0
	s_wait_kmcnt 0x0
	global_load_u16 v2, v1, s[4:5] scale_offset
	v_dual_add_nc_u32 v3, s0, v0 :: v_dual_lshlrev_b32 v0, 1, v0
	s_lshl_b32 s0, s0, 1
	v_lshrrev_b32_e32 v4, 26, v3
	v_cmp_gt_i32_e32 vcc_lo, 32, v3
	s_delay_alu instid0(VALU_DEP_2) | instskip(NEXT) | instid1(VALU_DEP_1)
	v_and_b32_e32 v4, 32, v4
	v_cndmask_b32_e32 v3, 0xffffffe0, v4, vcc_lo
	s_delay_alu instid0(VALU_DEP_1) | instskip(NEXT) | instid1(VALU_DEP_1)
	v_lshlrev_b32_e32 v3, 1, v3
	v_add3_u32 v3, v0, s0, v3
	s_wait_loadcnt 0x0
	ds_store_b16 v0, v2
	s_wait_dscnt 0x0
	; wave barrier
	ds_load_u16 v0, v3
	s_wait_dscnt 0x0
	global_store_b16 v1, v0, s[6:7] scale_offset
	s_endpgm
	.section	.rodata,"a",@progbits
	.p2align	6, 0x0
	.amdhsa_kernel _Z21shuffle_rotate_kernelILj32E12hip_bfloat16EvPT0_S2_i
		.amdhsa_group_segment_fixed_size 64
		.amdhsa_private_segment_fixed_size 0
		.amdhsa_kernarg_size 20
		.amdhsa_user_sgpr_count 2
		.amdhsa_user_sgpr_dispatch_ptr 0
		.amdhsa_user_sgpr_queue_ptr 0
		.amdhsa_user_sgpr_kernarg_segment_ptr 1
		.amdhsa_user_sgpr_dispatch_id 0
		.amdhsa_user_sgpr_kernarg_preload_length 0
		.amdhsa_user_sgpr_kernarg_preload_offset 0
		.amdhsa_user_sgpr_private_segment_size 0
		.amdhsa_wavefront_size32 1
		.amdhsa_uses_dynamic_stack 0
		.amdhsa_enable_private_segment 0
		.amdhsa_system_sgpr_workgroup_id_x 1
		.amdhsa_system_sgpr_workgroup_id_y 0
		.amdhsa_system_sgpr_workgroup_id_z 0
		.amdhsa_system_sgpr_workgroup_info 0
		.amdhsa_system_vgpr_workitem_id 0
		.amdhsa_next_free_vgpr 5
		.amdhsa_next_free_sgpr 9
		.amdhsa_named_barrier_count 0
		.amdhsa_reserve_vcc 1
		.amdhsa_float_round_mode_32 0
		.amdhsa_float_round_mode_16_64 0
		.amdhsa_float_denorm_mode_32 3
		.amdhsa_float_denorm_mode_16_64 3
		.amdhsa_fp16_overflow 0
		.amdhsa_memory_ordered 1
		.amdhsa_forward_progress 1
		.amdhsa_inst_pref_size 2
		.amdhsa_round_robin_scheduling 0
		.amdhsa_exception_fp_ieee_invalid_op 0
		.amdhsa_exception_fp_denorm_src 0
		.amdhsa_exception_fp_ieee_div_zero 0
		.amdhsa_exception_fp_ieee_overflow 0
		.amdhsa_exception_fp_ieee_underflow 0
		.amdhsa_exception_fp_ieee_inexact 0
		.amdhsa_exception_int_div_zero 0
	.end_amdhsa_kernel
	.section	.text._Z21shuffle_rotate_kernelILj32E12hip_bfloat16EvPT0_S2_i,"axG",@progbits,_Z21shuffle_rotate_kernelILj32E12hip_bfloat16EvPT0_S2_i,comdat
.Lfunc_end17:
	.size	_Z21shuffle_rotate_kernelILj32E12hip_bfloat16EvPT0_S2_i, .Lfunc_end17-_Z21shuffle_rotate_kernelILj32E12hip_bfloat16EvPT0_S2_i
                                        ; -- End function
	.set _Z21shuffle_rotate_kernelILj32E12hip_bfloat16EvPT0_S2_i.num_vgpr, 5
	.set _Z21shuffle_rotate_kernelILj32E12hip_bfloat16EvPT0_S2_i.num_agpr, 0
	.set _Z21shuffle_rotate_kernelILj32E12hip_bfloat16EvPT0_S2_i.numbered_sgpr, 9
	.set _Z21shuffle_rotate_kernelILj32E12hip_bfloat16EvPT0_S2_i.num_named_barrier, 0
	.set _Z21shuffle_rotate_kernelILj32E12hip_bfloat16EvPT0_S2_i.private_seg_size, 0
	.set _Z21shuffle_rotate_kernelILj32E12hip_bfloat16EvPT0_S2_i.uses_vcc, 1
	.set _Z21shuffle_rotate_kernelILj32E12hip_bfloat16EvPT0_S2_i.uses_flat_scratch, 0
	.set _Z21shuffle_rotate_kernelILj32E12hip_bfloat16EvPT0_S2_i.has_dyn_sized_stack, 0
	.set _Z21shuffle_rotate_kernelILj32E12hip_bfloat16EvPT0_S2_i.has_recursion, 0
	.set _Z21shuffle_rotate_kernelILj32E12hip_bfloat16EvPT0_S2_i.has_indirect_call, 0
	.section	.AMDGPU.csdata,"",@progbits
; Kernel info:
; codeLenInByte = 184
; TotalNumSgprs: 11
; NumVgprs: 5
; ScratchSize: 0
; MemoryBound: 0
; FloatMode: 240
; IeeeMode: 1
; LDSByteSize: 64 bytes/workgroup (compile time only)
; SGPRBlocks: 0
; VGPRBlocks: 0
; NumSGPRsForWavesPerEU: 11
; NumVGPRsForWavesPerEU: 5
; NamedBarCnt: 0
; Occupancy: 16
; WaveLimiterHint : 0
; COMPUTE_PGM_RSRC2:SCRATCH_EN: 0
; COMPUTE_PGM_RSRC2:USER_SGPR: 2
; COMPUTE_PGM_RSRC2:TRAP_HANDLER: 0
; COMPUTE_PGM_RSRC2:TGID_X_EN: 1
; COMPUTE_PGM_RSRC2:TGID_Y_EN: 0
; COMPUTE_PGM_RSRC2:TGID_Z_EN: 0
; COMPUTE_PGM_RSRC2:TIDIG_COMP_CNT: 0
	.section	.text._Z21shuffle_rotate_kernelILj32E6__halfEvPT0_S2_i,"axG",@progbits,_Z21shuffle_rotate_kernelILj32E6__halfEvPT0_S2_i,comdat
	.protected	_Z21shuffle_rotate_kernelILj32E6__halfEvPT0_S2_i ; -- Begin function _Z21shuffle_rotate_kernelILj32E6__halfEvPT0_S2_i
	.globl	_Z21shuffle_rotate_kernelILj32E6__halfEvPT0_S2_i
	.p2align	8
	.type	_Z21shuffle_rotate_kernelILj32E6__halfEvPT0_S2_i,@function
_Z21shuffle_rotate_kernelILj32E6__halfEvPT0_S2_i: ; @_Z21shuffle_rotate_kernelILj32E6__halfEvPT0_S2_i
; %bb.0:
	s_load_b128 s[4:7], s[0:1], 0x0
	s_bfe_u32 s2, ttmp6, 0x4000c
	s_and_b32 s3, ttmp6, 15
	s_add_co_i32 s2, s2, 1
	s_getreg_b32 s8, hwreg(HW_REG_IB_STS2, 6, 4)
	s_mul_i32 s2, ttmp9, s2
	s_wait_xcnt 0x0
	s_load_b32 s0, s[0:1], 0x10
	s_add_co_i32 s3, s3, s2
	s_cmp_eq_u32 s8, 0
	s_cselect_b32 s2, ttmp9, s3
	s_delay_alu instid0(SALU_CYCLE_1) | instskip(SKIP_4) | instid1(VALU_DEP_1)
	v_lshl_or_b32 v1, s2, 5, v0
	s_wait_kmcnt 0x0
	global_load_u16 v2, v1, s[4:5] scale_offset
	v_dual_add_nc_u32 v3, s0, v0 :: v_dual_lshlrev_b32 v0, 1, v0
	s_lshl_b32 s0, s0, 1
	v_lshrrev_b32_e32 v4, 26, v3
	v_cmp_gt_i32_e32 vcc_lo, 32, v3
	s_delay_alu instid0(VALU_DEP_2) | instskip(NEXT) | instid1(VALU_DEP_1)
	v_and_b32_e32 v4, 32, v4
	v_cndmask_b32_e32 v3, 0xffffffe0, v4, vcc_lo
	s_delay_alu instid0(VALU_DEP_1) | instskip(NEXT) | instid1(VALU_DEP_1)
	v_lshlrev_b32_e32 v3, 1, v3
	v_add3_u32 v3, v0, s0, v3
	s_wait_loadcnt 0x0
	ds_store_b16 v0, v2
	s_wait_dscnt 0x0
	; wave barrier
	ds_load_u16 v0, v3
	s_wait_dscnt 0x0
	global_store_b16 v1, v0, s[6:7] scale_offset
	s_endpgm
	.section	.rodata,"a",@progbits
	.p2align	6, 0x0
	.amdhsa_kernel _Z21shuffle_rotate_kernelILj32E6__halfEvPT0_S2_i
		.amdhsa_group_segment_fixed_size 64
		.amdhsa_private_segment_fixed_size 0
		.amdhsa_kernarg_size 20
		.amdhsa_user_sgpr_count 2
		.amdhsa_user_sgpr_dispatch_ptr 0
		.amdhsa_user_sgpr_queue_ptr 0
		.amdhsa_user_sgpr_kernarg_segment_ptr 1
		.amdhsa_user_sgpr_dispatch_id 0
		.amdhsa_user_sgpr_kernarg_preload_length 0
		.amdhsa_user_sgpr_kernarg_preload_offset 0
		.amdhsa_user_sgpr_private_segment_size 0
		.amdhsa_wavefront_size32 1
		.amdhsa_uses_dynamic_stack 0
		.amdhsa_enable_private_segment 0
		.amdhsa_system_sgpr_workgroup_id_x 1
		.amdhsa_system_sgpr_workgroup_id_y 0
		.amdhsa_system_sgpr_workgroup_id_z 0
		.amdhsa_system_sgpr_workgroup_info 0
		.amdhsa_system_vgpr_workitem_id 0
		.amdhsa_next_free_vgpr 5
		.amdhsa_next_free_sgpr 9
		.amdhsa_named_barrier_count 0
		.amdhsa_reserve_vcc 1
		.amdhsa_float_round_mode_32 0
		.amdhsa_float_round_mode_16_64 0
		.amdhsa_float_denorm_mode_32 3
		.amdhsa_float_denorm_mode_16_64 3
		.amdhsa_fp16_overflow 0
		.amdhsa_memory_ordered 1
		.amdhsa_forward_progress 1
		.amdhsa_inst_pref_size 2
		.amdhsa_round_robin_scheduling 0
		.amdhsa_exception_fp_ieee_invalid_op 0
		.amdhsa_exception_fp_denorm_src 0
		.amdhsa_exception_fp_ieee_div_zero 0
		.amdhsa_exception_fp_ieee_overflow 0
		.amdhsa_exception_fp_ieee_underflow 0
		.amdhsa_exception_fp_ieee_inexact 0
		.amdhsa_exception_int_div_zero 0
	.end_amdhsa_kernel
	.section	.text._Z21shuffle_rotate_kernelILj32E6__halfEvPT0_S2_i,"axG",@progbits,_Z21shuffle_rotate_kernelILj32E6__halfEvPT0_S2_i,comdat
.Lfunc_end18:
	.size	_Z21shuffle_rotate_kernelILj32E6__halfEvPT0_S2_i, .Lfunc_end18-_Z21shuffle_rotate_kernelILj32E6__halfEvPT0_S2_i
                                        ; -- End function
	.set _Z21shuffle_rotate_kernelILj32E6__halfEvPT0_S2_i.num_vgpr, 5
	.set _Z21shuffle_rotate_kernelILj32E6__halfEvPT0_S2_i.num_agpr, 0
	.set _Z21shuffle_rotate_kernelILj32E6__halfEvPT0_S2_i.numbered_sgpr, 9
	.set _Z21shuffle_rotate_kernelILj32E6__halfEvPT0_S2_i.num_named_barrier, 0
	.set _Z21shuffle_rotate_kernelILj32E6__halfEvPT0_S2_i.private_seg_size, 0
	.set _Z21shuffle_rotate_kernelILj32E6__halfEvPT0_S2_i.uses_vcc, 1
	.set _Z21shuffle_rotate_kernelILj32E6__halfEvPT0_S2_i.uses_flat_scratch, 0
	.set _Z21shuffle_rotate_kernelILj32E6__halfEvPT0_S2_i.has_dyn_sized_stack, 0
	.set _Z21shuffle_rotate_kernelILj32E6__halfEvPT0_S2_i.has_recursion, 0
	.set _Z21shuffle_rotate_kernelILj32E6__halfEvPT0_S2_i.has_indirect_call, 0
	.section	.AMDGPU.csdata,"",@progbits
; Kernel info:
; codeLenInByte = 184
; TotalNumSgprs: 11
; NumVgprs: 5
; ScratchSize: 0
; MemoryBound: 0
; FloatMode: 240
; IeeeMode: 1
; LDSByteSize: 64 bytes/workgroup (compile time only)
; SGPRBlocks: 0
; VGPRBlocks: 0
; NumSGPRsForWavesPerEU: 11
; NumVGPRsForWavesPerEU: 5
; NamedBarCnt: 0
; Occupancy: 16
; WaveLimiterHint : 0
; COMPUTE_PGM_RSRC2:SCRATCH_EN: 0
; COMPUTE_PGM_RSRC2:USER_SGPR: 2
; COMPUTE_PGM_RSRC2:TRAP_HANDLER: 0
; COMPUTE_PGM_RSRC2:TGID_X_EN: 1
; COMPUTE_PGM_RSRC2:TGID_Y_EN: 0
; COMPUTE_PGM_RSRC2:TGID_Z_EN: 0
; COMPUTE_PGM_RSRC2:TIDIG_COMP_CNT: 0
	.section	.text._Z21shuffle_rotate_kernelILj32EfEvPT0_S1_i,"axG",@progbits,_Z21shuffle_rotate_kernelILj32EfEvPT0_S1_i,comdat
	.protected	_Z21shuffle_rotate_kernelILj32EfEvPT0_S1_i ; -- Begin function _Z21shuffle_rotate_kernelILj32EfEvPT0_S1_i
	.globl	_Z21shuffle_rotate_kernelILj32EfEvPT0_S1_i
	.p2align	8
	.type	_Z21shuffle_rotate_kernelILj32EfEvPT0_S1_i,@function
_Z21shuffle_rotate_kernelILj32EfEvPT0_S1_i: ; @_Z21shuffle_rotate_kernelILj32EfEvPT0_S1_i
; %bb.0:
	s_load_b128 s[4:7], s[0:1], 0x0
	s_bfe_u32 s2, ttmp6, 0x4000c
	s_and_b32 s3, ttmp6, 15
	s_add_co_i32 s2, s2, 1
	s_getreg_b32 s8, hwreg(HW_REG_IB_STS2, 6, 4)
	s_mul_i32 s2, ttmp9, s2
	s_wait_xcnt 0x0
	s_load_b32 s0, s[0:1], 0x10
	s_add_co_i32 s3, s3, s2
	s_cmp_eq_u32 s8, 0
	s_cselect_b32 s2, ttmp9, s3
	s_delay_alu instid0(SALU_CYCLE_1) | instskip(SKIP_4) | instid1(VALU_DEP_1)
	v_lshl_or_b32 v1, s2, 5, v0
	s_wait_kmcnt 0x0
	global_load_b32 v2, v1, s[4:5] scale_offset
	v_dual_add_nc_u32 v3, s0, v0 :: v_dual_lshlrev_b32 v0, 2, v0
	s_lshl_b32 s0, s0, 2
	v_lshrrev_b32_e32 v4, 26, v3
	v_cmp_gt_i32_e32 vcc_lo, 32, v3
	s_delay_alu instid0(VALU_DEP_2) | instskip(NEXT) | instid1(VALU_DEP_1)
	v_and_b32_e32 v4, 32, v4
	v_cndmask_b32_e32 v3, 0xffffffe0, v4, vcc_lo
	s_delay_alu instid0(VALU_DEP_1) | instskip(NEXT) | instid1(VALU_DEP_1)
	v_lshlrev_b32_e32 v3, 2, v3
	v_add3_u32 v3, v0, s0, v3
	s_wait_loadcnt 0x0
	ds_store_b32 v0, v2
	s_wait_dscnt 0x0
	; wave barrier
	ds_load_b32 v0, v3
	s_wait_dscnt 0x0
	global_store_b32 v1, v0, s[6:7] scale_offset
	s_endpgm
	.section	.rodata,"a",@progbits
	.p2align	6, 0x0
	.amdhsa_kernel _Z21shuffle_rotate_kernelILj32EfEvPT0_S1_i
		.amdhsa_group_segment_fixed_size 128
		.amdhsa_private_segment_fixed_size 0
		.amdhsa_kernarg_size 20
		.amdhsa_user_sgpr_count 2
		.amdhsa_user_sgpr_dispatch_ptr 0
		.amdhsa_user_sgpr_queue_ptr 0
		.amdhsa_user_sgpr_kernarg_segment_ptr 1
		.amdhsa_user_sgpr_dispatch_id 0
		.amdhsa_user_sgpr_kernarg_preload_length 0
		.amdhsa_user_sgpr_kernarg_preload_offset 0
		.amdhsa_user_sgpr_private_segment_size 0
		.amdhsa_wavefront_size32 1
		.amdhsa_uses_dynamic_stack 0
		.amdhsa_enable_private_segment 0
		.amdhsa_system_sgpr_workgroup_id_x 1
		.amdhsa_system_sgpr_workgroup_id_y 0
		.amdhsa_system_sgpr_workgroup_id_z 0
		.amdhsa_system_sgpr_workgroup_info 0
		.amdhsa_system_vgpr_workitem_id 0
		.amdhsa_next_free_vgpr 5
		.amdhsa_next_free_sgpr 9
		.amdhsa_named_barrier_count 0
		.amdhsa_reserve_vcc 1
		.amdhsa_float_round_mode_32 0
		.amdhsa_float_round_mode_16_64 0
		.amdhsa_float_denorm_mode_32 3
		.amdhsa_float_denorm_mode_16_64 3
		.amdhsa_fp16_overflow 0
		.amdhsa_memory_ordered 1
		.amdhsa_forward_progress 1
		.amdhsa_inst_pref_size 2
		.amdhsa_round_robin_scheduling 0
		.amdhsa_exception_fp_ieee_invalid_op 0
		.amdhsa_exception_fp_denorm_src 0
		.amdhsa_exception_fp_ieee_div_zero 0
		.amdhsa_exception_fp_ieee_overflow 0
		.amdhsa_exception_fp_ieee_underflow 0
		.amdhsa_exception_fp_ieee_inexact 0
		.amdhsa_exception_int_div_zero 0
	.end_amdhsa_kernel
	.section	.text._Z21shuffle_rotate_kernelILj32EfEvPT0_S1_i,"axG",@progbits,_Z21shuffle_rotate_kernelILj32EfEvPT0_S1_i,comdat
.Lfunc_end19:
	.size	_Z21shuffle_rotate_kernelILj32EfEvPT0_S1_i, .Lfunc_end19-_Z21shuffle_rotate_kernelILj32EfEvPT0_S1_i
                                        ; -- End function
	.set _Z21shuffle_rotate_kernelILj32EfEvPT0_S1_i.num_vgpr, 5
	.set _Z21shuffle_rotate_kernelILj32EfEvPT0_S1_i.num_agpr, 0
	.set _Z21shuffle_rotate_kernelILj32EfEvPT0_S1_i.numbered_sgpr, 9
	.set _Z21shuffle_rotate_kernelILj32EfEvPT0_S1_i.num_named_barrier, 0
	.set _Z21shuffle_rotate_kernelILj32EfEvPT0_S1_i.private_seg_size, 0
	.set _Z21shuffle_rotate_kernelILj32EfEvPT0_S1_i.uses_vcc, 1
	.set _Z21shuffle_rotate_kernelILj32EfEvPT0_S1_i.uses_flat_scratch, 0
	.set _Z21shuffle_rotate_kernelILj32EfEvPT0_S1_i.has_dyn_sized_stack, 0
	.set _Z21shuffle_rotate_kernelILj32EfEvPT0_S1_i.has_recursion, 0
	.set _Z21shuffle_rotate_kernelILj32EfEvPT0_S1_i.has_indirect_call, 0
	.section	.AMDGPU.csdata,"",@progbits
; Kernel info:
; codeLenInByte = 184
; TotalNumSgprs: 11
; NumVgprs: 5
; ScratchSize: 0
; MemoryBound: 0
; FloatMode: 240
; IeeeMode: 1
; LDSByteSize: 128 bytes/workgroup (compile time only)
; SGPRBlocks: 0
; VGPRBlocks: 0
; NumSGPRsForWavesPerEU: 11
; NumVGPRsForWavesPerEU: 5
; NamedBarCnt: 0
; Occupancy: 16
; WaveLimiterHint : 0
; COMPUTE_PGM_RSRC2:SCRATCH_EN: 0
; COMPUTE_PGM_RSRC2:USER_SGPR: 2
; COMPUTE_PGM_RSRC2:TRAP_HANDLER: 0
; COMPUTE_PGM_RSRC2:TGID_X_EN: 1
; COMPUTE_PGM_RSRC2:TGID_Y_EN: 0
; COMPUTE_PGM_RSRC2:TGID_Z_EN: 0
; COMPUTE_PGM_RSRC2:TIDIG_COMP_CNT: 0
	.section	.text._Z21shuffle_rotate_kernelILj377ElEvPT0_S1_i,"axG",@progbits,_Z21shuffle_rotate_kernelILj377ElEvPT0_S1_i,comdat
	.protected	_Z21shuffle_rotate_kernelILj377ElEvPT0_S1_i ; -- Begin function _Z21shuffle_rotate_kernelILj377ElEvPT0_S1_i
	.globl	_Z21shuffle_rotate_kernelILj377ElEvPT0_S1_i
	.p2align	8
	.type	_Z21shuffle_rotate_kernelILj377ElEvPT0_S1_i,@function
_Z21shuffle_rotate_kernelILj377ElEvPT0_S1_i: ; @_Z21shuffle_rotate_kernelILj377ElEvPT0_S1_i
; %bb.0:
	s_bfe_u32 s2, ttmp6, 0x4000c
	s_load_b128 s[4:7], s[0:1], 0x0
	s_add_co_i32 s2, s2, 1
	s_and_b32 s3, ttmp6, 15
	s_mul_i32 s2, ttmp9, s2
	s_getreg_b32 s8, hwreg(HW_REG_IB_STS2, 6, 4)
	s_add_co_i32 s3, s3, s2
	s_cmp_eq_u32 s8, 0
	s_wait_xcnt 0x0
	s_load_b32 s0, s[0:1], 0x10
	s_cselect_b32 s2, ttmp9, s3
	s_delay_alu instid0(SALU_CYCLE_1) | instskip(SKIP_3) | instid1(VALU_DEP_1)
	v_mad_u32 v4, 0x179, s2, v0
	s_wait_kmcnt 0x0
	global_load_b64 v[2:3], v4, s[4:5] scale_offset
	v_dual_add_nc_u32 v1, s0, v0 :: v_dual_lshlrev_b32 v0, 3, v0
	v_add_nc_u32_e32 v5, 0x179, v1
	v_cmp_gt_i32_e32 vcc_lo, 0, v1
	v_add_nc_u32_e32 v6, 0xfffffe87, v1
	s_delay_alu instid0(VALU_DEP_3) | instskip(SKIP_1) | instid1(VALU_DEP_2)
	v_cndmask_b32_e32 v5, v1, v5, vcc_lo
	v_cmp_lt_i32_e32 vcc_lo, 0x178, v1
	v_cndmask_b32_e32 v1, v5, v6, vcc_lo
	s_delay_alu instid0(VALU_DEP_1)
	v_lshlrev_b32_e32 v1, 3, v1
	s_wait_loadcnt 0x0
	ds_store_b64 v0, v[2:3]
	s_wait_dscnt 0x0
	s_barrier_signal -1
	s_barrier_wait -1
	ds_load_b64 v[0:1], v1
	s_wait_dscnt 0x0
	global_store_b64 v4, v[0:1], s[6:7] scale_offset
	s_endpgm
	.section	.rodata,"a",@progbits
	.p2align	6, 0x0
	.amdhsa_kernel _Z21shuffle_rotate_kernelILj377ElEvPT0_S1_i
		.amdhsa_group_segment_fixed_size 3016
		.amdhsa_private_segment_fixed_size 0
		.amdhsa_kernarg_size 20
		.amdhsa_user_sgpr_count 2
		.amdhsa_user_sgpr_dispatch_ptr 0
		.amdhsa_user_sgpr_queue_ptr 0
		.amdhsa_user_sgpr_kernarg_segment_ptr 1
		.amdhsa_user_sgpr_dispatch_id 0
		.amdhsa_user_sgpr_kernarg_preload_length 0
		.amdhsa_user_sgpr_kernarg_preload_offset 0
		.amdhsa_user_sgpr_private_segment_size 0
		.amdhsa_wavefront_size32 1
		.amdhsa_uses_dynamic_stack 0
		.amdhsa_enable_private_segment 0
		.amdhsa_system_sgpr_workgroup_id_x 1
		.amdhsa_system_sgpr_workgroup_id_y 0
		.amdhsa_system_sgpr_workgroup_id_z 0
		.amdhsa_system_sgpr_workgroup_info 0
		.amdhsa_system_vgpr_workitem_id 0
		.amdhsa_next_free_vgpr 7
		.amdhsa_next_free_sgpr 9
		.amdhsa_named_barrier_count 0
		.amdhsa_reserve_vcc 1
		.amdhsa_float_round_mode_32 0
		.amdhsa_float_round_mode_16_64 0
		.amdhsa_float_denorm_mode_32 3
		.amdhsa_float_denorm_mode_16_64 3
		.amdhsa_fp16_overflow 0
		.amdhsa_memory_ordered 1
		.amdhsa_forward_progress 1
		.amdhsa_inst_pref_size 2
		.amdhsa_round_robin_scheduling 0
		.amdhsa_exception_fp_ieee_invalid_op 0
		.amdhsa_exception_fp_denorm_src 0
		.amdhsa_exception_fp_ieee_div_zero 0
		.amdhsa_exception_fp_ieee_overflow 0
		.amdhsa_exception_fp_ieee_underflow 0
		.amdhsa_exception_fp_ieee_inexact 0
		.amdhsa_exception_int_div_zero 0
	.end_amdhsa_kernel
	.section	.text._Z21shuffle_rotate_kernelILj377ElEvPT0_S1_i,"axG",@progbits,_Z21shuffle_rotate_kernelILj377ElEvPT0_S1_i,comdat
.Lfunc_end20:
	.size	_Z21shuffle_rotate_kernelILj377ElEvPT0_S1_i, .Lfunc_end20-_Z21shuffle_rotate_kernelILj377ElEvPT0_S1_i
                                        ; -- End function
	.set _Z21shuffle_rotate_kernelILj377ElEvPT0_S1_i.num_vgpr, 7
	.set _Z21shuffle_rotate_kernelILj377ElEvPT0_S1_i.num_agpr, 0
	.set _Z21shuffle_rotate_kernelILj377ElEvPT0_S1_i.numbered_sgpr, 9
	.set _Z21shuffle_rotate_kernelILj377ElEvPT0_S1_i.num_named_barrier, 0
	.set _Z21shuffle_rotate_kernelILj377ElEvPT0_S1_i.private_seg_size, 0
	.set _Z21shuffle_rotate_kernelILj377ElEvPT0_S1_i.uses_vcc, 1
	.set _Z21shuffle_rotate_kernelILj377ElEvPT0_S1_i.uses_flat_scratch, 0
	.set _Z21shuffle_rotate_kernelILj377ElEvPT0_S1_i.has_dyn_sized_stack, 0
	.set _Z21shuffle_rotate_kernelILj377ElEvPT0_S1_i.has_recursion, 0
	.set _Z21shuffle_rotate_kernelILj377ElEvPT0_S1_i.has_indirect_call, 0
	.section	.AMDGPU.csdata,"",@progbits
; Kernel info:
; codeLenInByte = 200
; TotalNumSgprs: 11
; NumVgprs: 7
; ScratchSize: 0
; MemoryBound: 0
; FloatMode: 240
; IeeeMode: 1
; LDSByteSize: 3016 bytes/workgroup (compile time only)
; SGPRBlocks: 0
; VGPRBlocks: 0
; NumSGPRsForWavesPerEU: 11
; NumVGPRsForWavesPerEU: 7
; NamedBarCnt: 0
; Occupancy: 16
; WaveLimiterHint : 0
; COMPUTE_PGM_RSRC2:SCRATCH_EN: 0
; COMPUTE_PGM_RSRC2:USER_SGPR: 2
; COMPUTE_PGM_RSRC2:TRAP_HANDLER: 0
; COMPUTE_PGM_RSRC2:TGID_X_EN: 1
; COMPUTE_PGM_RSRC2:TGID_Y_EN: 0
; COMPUTE_PGM_RSRC2:TGID_Z_EN: 0
; COMPUTE_PGM_RSRC2:TIDIG_COMP_CNT: 0
	.section	.text._Z21shuffle_rotate_kernelILj256ElEvPT0_S1_i,"axG",@progbits,_Z21shuffle_rotate_kernelILj256ElEvPT0_S1_i,comdat
	.protected	_Z21shuffle_rotate_kernelILj256ElEvPT0_S1_i ; -- Begin function _Z21shuffle_rotate_kernelILj256ElEvPT0_S1_i
	.globl	_Z21shuffle_rotate_kernelILj256ElEvPT0_S1_i
	.p2align	8
	.type	_Z21shuffle_rotate_kernelILj256ElEvPT0_S1_i,@function
_Z21shuffle_rotate_kernelILj256ElEvPT0_S1_i: ; @_Z21shuffle_rotate_kernelILj256ElEvPT0_S1_i
; %bb.0:
	s_load_b128 s[4:7], s[0:1], 0x0
	s_bfe_u32 s2, ttmp6, 0x4000c
	s_and_b32 s3, ttmp6, 15
	s_add_co_i32 s2, s2, 1
	s_getreg_b32 s8, hwreg(HW_REG_IB_STS2, 6, 4)
	s_mul_i32 s2, ttmp9, s2
	s_wait_xcnt 0x0
	s_load_b32 s0, s[0:1], 0x10
	s_add_co_i32 s3, s3, s2
	s_cmp_eq_u32 s8, 0
	s_cselect_b32 s2, ttmp9, s3
	s_delay_alu instid0(SALU_CYCLE_1) | instskip(SKIP_4) | instid1(VALU_DEP_1)
	v_lshl_or_b32 v4, s2, 8, v0
	s_wait_kmcnt 0x0
	global_load_b64 v[2:3], v4, s[4:5] scale_offset
	v_dual_add_nc_u32 v1, s0, v0 :: v_dual_lshlrev_b32 v0, 3, v0
	s_lshl_b32 s0, s0, 3
	v_lshrrev_b32_e32 v5, 23, v1
	v_cmp_gt_i32_e32 vcc_lo, 0x100, v1
	s_delay_alu instid0(VALU_DEP_2) | instskip(NEXT) | instid1(VALU_DEP_1)
	v_and_b32_e32 v5, 0x100, v5
	v_cndmask_b32_e32 v1, 0xffffff00, v5, vcc_lo
	s_delay_alu instid0(VALU_DEP_1) | instskip(NEXT) | instid1(VALU_DEP_1)
	v_lshlrev_b32_e32 v1, 3, v1
	v_add3_u32 v1, v0, s0, v1
	s_wait_loadcnt 0x0
	ds_store_b64 v0, v[2:3]
	s_wait_dscnt 0x0
	s_barrier_signal -1
	s_barrier_wait -1
	ds_load_b64 v[0:1], v1
	s_wait_dscnt 0x0
	global_store_b64 v4, v[0:1], s[6:7] scale_offset
	s_endpgm
	.section	.rodata,"a",@progbits
	.p2align	6, 0x0
	.amdhsa_kernel _Z21shuffle_rotate_kernelILj256ElEvPT0_S1_i
		.amdhsa_group_segment_fixed_size 2048
		.amdhsa_private_segment_fixed_size 0
		.amdhsa_kernarg_size 20
		.amdhsa_user_sgpr_count 2
		.amdhsa_user_sgpr_dispatch_ptr 0
		.amdhsa_user_sgpr_queue_ptr 0
		.amdhsa_user_sgpr_kernarg_segment_ptr 1
		.amdhsa_user_sgpr_dispatch_id 0
		.amdhsa_user_sgpr_kernarg_preload_length 0
		.amdhsa_user_sgpr_kernarg_preload_offset 0
		.amdhsa_user_sgpr_private_segment_size 0
		.amdhsa_wavefront_size32 1
		.amdhsa_uses_dynamic_stack 0
		.amdhsa_enable_private_segment 0
		.amdhsa_system_sgpr_workgroup_id_x 1
		.amdhsa_system_sgpr_workgroup_id_y 0
		.amdhsa_system_sgpr_workgroup_id_z 0
		.amdhsa_system_sgpr_workgroup_info 0
		.amdhsa_system_vgpr_workitem_id 0
		.amdhsa_next_free_vgpr 6
		.amdhsa_next_free_sgpr 9
		.amdhsa_named_barrier_count 0
		.amdhsa_reserve_vcc 1
		.amdhsa_float_round_mode_32 0
		.amdhsa_float_round_mode_16_64 0
		.amdhsa_float_denorm_mode_32 3
		.amdhsa_float_denorm_mode_16_64 3
		.amdhsa_fp16_overflow 0
		.amdhsa_memory_ordered 1
		.amdhsa_forward_progress 1
		.amdhsa_inst_pref_size 2
		.amdhsa_round_robin_scheduling 0
		.amdhsa_exception_fp_ieee_invalid_op 0
		.amdhsa_exception_fp_denorm_src 0
		.amdhsa_exception_fp_ieee_div_zero 0
		.amdhsa_exception_fp_ieee_overflow 0
		.amdhsa_exception_fp_ieee_underflow 0
		.amdhsa_exception_fp_ieee_inexact 0
		.amdhsa_exception_int_div_zero 0
	.end_amdhsa_kernel
	.section	.text._Z21shuffle_rotate_kernelILj256ElEvPT0_S1_i,"axG",@progbits,_Z21shuffle_rotate_kernelILj256ElEvPT0_S1_i,comdat
.Lfunc_end21:
	.size	_Z21shuffle_rotate_kernelILj256ElEvPT0_S1_i, .Lfunc_end21-_Z21shuffle_rotate_kernelILj256ElEvPT0_S1_i
                                        ; -- End function
	.set _Z21shuffle_rotate_kernelILj256ElEvPT0_S1_i.num_vgpr, 6
	.set _Z21shuffle_rotate_kernelILj256ElEvPT0_S1_i.num_agpr, 0
	.set _Z21shuffle_rotate_kernelILj256ElEvPT0_S1_i.numbered_sgpr, 9
	.set _Z21shuffle_rotate_kernelILj256ElEvPT0_S1_i.num_named_barrier, 0
	.set _Z21shuffle_rotate_kernelILj256ElEvPT0_S1_i.private_seg_size, 0
	.set _Z21shuffle_rotate_kernelILj256ElEvPT0_S1_i.uses_vcc, 1
	.set _Z21shuffle_rotate_kernelILj256ElEvPT0_S1_i.uses_flat_scratch, 0
	.set _Z21shuffle_rotate_kernelILj256ElEvPT0_S1_i.has_dyn_sized_stack, 0
	.set _Z21shuffle_rotate_kernelILj256ElEvPT0_S1_i.has_recursion, 0
	.set _Z21shuffle_rotate_kernelILj256ElEvPT0_S1_i.has_indirect_call, 0
	.section	.AMDGPU.csdata,"",@progbits
; Kernel info:
; codeLenInByte = 200
; TotalNumSgprs: 11
; NumVgprs: 6
; ScratchSize: 0
; MemoryBound: 0
; FloatMode: 240
; IeeeMode: 1
; LDSByteSize: 2048 bytes/workgroup (compile time only)
; SGPRBlocks: 0
; VGPRBlocks: 0
; NumSGPRsForWavesPerEU: 11
; NumVGPRsForWavesPerEU: 6
; NamedBarCnt: 0
; Occupancy: 16
; WaveLimiterHint : 0
; COMPUTE_PGM_RSRC2:SCRATCH_EN: 0
; COMPUTE_PGM_RSRC2:USER_SGPR: 2
; COMPUTE_PGM_RSRC2:TRAP_HANDLER: 0
; COMPUTE_PGM_RSRC2:TGID_X_EN: 1
; COMPUTE_PGM_RSRC2:TGID_Y_EN: 0
; COMPUTE_PGM_RSRC2:TGID_Z_EN: 0
; COMPUTE_PGM_RSRC2:TIDIG_COMP_CNT: 0
	.section	.text._Z21shuffle_rotate_kernelILj64ElEvPT0_S1_i,"axG",@progbits,_Z21shuffle_rotate_kernelILj64ElEvPT0_S1_i,comdat
	.protected	_Z21shuffle_rotate_kernelILj64ElEvPT0_S1_i ; -- Begin function _Z21shuffle_rotate_kernelILj64ElEvPT0_S1_i
	.globl	_Z21shuffle_rotate_kernelILj64ElEvPT0_S1_i
	.p2align	8
	.type	_Z21shuffle_rotate_kernelILj64ElEvPT0_S1_i,@function
_Z21shuffle_rotate_kernelILj64ElEvPT0_S1_i: ; @_Z21shuffle_rotate_kernelILj64ElEvPT0_S1_i
; %bb.0:
	s_load_b128 s[4:7], s[0:1], 0x0
	s_bfe_u32 s2, ttmp6, 0x4000c
	s_and_b32 s3, ttmp6, 15
	s_add_co_i32 s2, s2, 1
	s_getreg_b32 s8, hwreg(HW_REG_IB_STS2, 6, 4)
	s_mul_i32 s2, ttmp9, s2
	s_wait_xcnt 0x0
	s_load_b32 s0, s[0:1], 0x10
	s_add_co_i32 s3, s3, s2
	s_cmp_eq_u32 s8, 0
	s_cselect_b32 s2, ttmp9, s3
	s_delay_alu instid0(SALU_CYCLE_1) | instskip(SKIP_4) | instid1(VALU_DEP_1)
	v_lshl_or_b32 v4, s2, 6, v0
	s_wait_kmcnt 0x0
	global_load_b64 v[2:3], v4, s[4:5] scale_offset
	v_dual_add_nc_u32 v1, s0, v0 :: v_dual_lshlrev_b32 v0, 3, v0
	s_lshl_b32 s0, s0, 3
	v_lshrrev_b32_e32 v5, 25, v1
	s_delay_alu instid0(VALU_DEP_1) | instskip(SKIP_1) | instid1(VALU_DEP_2)
	v_and_b32_e32 v5, 64, v5
	v_cmp_gt_i32_e32 vcc_lo, 64, v1
	v_cndmask_b32_e32 v1, 0xffffffc0, v5, vcc_lo
	s_delay_alu instid0(VALU_DEP_1) | instskip(NEXT) | instid1(VALU_DEP_1)
	v_lshlrev_b32_e32 v1, 3, v1
	v_add3_u32 v1, v0, s0, v1
	s_wait_loadcnt 0x0
	ds_store_b64 v0, v[2:3]
	s_wait_dscnt 0x0
	s_barrier_signal -1
	s_barrier_wait -1
	ds_load_b64 v[0:1], v1
	s_wait_dscnt 0x0
	global_store_b64 v4, v[0:1], s[6:7] scale_offset
	s_endpgm
	.section	.rodata,"a",@progbits
	.p2align	6, 0x0
	.amdhsa_kernel _Z21shuffle_rotate_kernelILj64ElEvPT0_S1_i
		.amdhsa_group_segment_fixed_size 512
		.amdhsa_private_segment_fixed_size 0
		.amdhsa_kernarg_size 20
		.amdhsa_user_sgpr_count 2
		.amdhsa_user_sgpr_dispatch_ptr 0
		.amdhsa_user_sgpr_queue_ptr 0
		.amdhsa_user_sgpr_kernarg_segment_ptr 1
		.amdhsa_user_sgpr_dispatch_id 0
		.amdhsa_user_sgpr_kernarg_preload_length 0
		.amdhsa_user_sgpr_kernarg_preload_offset 0
		.amdhsa_user_sgpr_private_segment_size 0
		.amdhsa_wavefront_size32 1
		.amdhsa_uses_dynamic_stack 0
		.amdhsa_enable_private_segment 0
		.amdhsa_system_sgpr_workgroup_id_x 1
		.amdhsa_system_sgpr_workgroup_id_y 0
		.amdhsa_system_sgpr_workgroup_id_z 0
		.amdhsa_system_sgpr_workgroup_info 0
		.amdhsa_system_vgpr_workitem_id 0
		.amdhsa_next_free_vgpr 6
		.amdhsa_next_free_sgpr 9
		.amdhsa_named_barrier_count 0
		.amdhsa_reserve_vcc 1
		.amdhsa_float_round_mode_32 0
		.amdhsa_float_round_mode_16_64 0
		.amdhsa_float_denorm_mode_32 3
		.amdhsa_float_denorm_mode_16_64 3
		.amdhsa_fp16_overflow 0
		.amdhsa_memory_ordered 1
		.amdhsa_forward_progress 1
		.amdhsa_inst_pref_size 2
		.amdhsa_round_robin_scheduling 0
		.amdhsa_exception_fp_ieee_invalid_op 0
		.amdhsa_exception_fp_denorm_src 0
		.amdhsa_exception_fp_ieee_div_zero 0
		.amdhsa_exception_fp_ieee_overflow 0
		.amdhsa_exception_fp_ieee_underflow 0
		.amdhsa_exception_fp_ieee_inexact 0
		.amdhsa_exception_int_div_zero 0
	.end_amdhsa_kernel
	.section	.text._Z21shuffle_rotate_kernelILj64ElEvPT0_S1_i,"axG",@progbits,_Z21shuffle_rotate_kernelILj64ElEvPT0_S1_i,comdat
.Lfunc_end22:
	.size	_Z21shuffle_rotate_kernelILj64ElEvPT0_S1_i, .Lfunc_end22-_Z21shuffle_rotate_kernelILj64ElEvPT0_S1_i
                                        ; -- End function
	.set _Z21shuffle_rotate_kernelILj64ElEvPT0_S1_i.num_vgpr, 6
	.set _Z21shuffle_rotate_kernelILj64ElEvPT0_S1_i.num_agpr, 0
	.set _Z21shuffle_rotate_kernelILj64ElEvPT0_S1_i.numbered_sgpr, 9
	.set _Z21shuffle_rotate_kernelILj64ElEvPT0_S1_i.num_named_barrier, 0
	.set _Z21shuffle_rotate_kernelILj64ElEvPT0_S1_i.private_seg_size, 0
	.set _Z21shuffle_rotate_kernelILj64ElEvPT0_S1_i.uses_vcc, 1
	.set _Z21shuffle_rotate_kernelILj64ElEvPT0_S1_i.uses_flat_scratch, 0
	.set _Z21shuffle_rotate_kernelILj64ElEvPT0_S1_i.has_dyn_sized_stack, 0
	.set _Z21shuffle_rotate_kernelILj64ElEvPT0_S1_i.has_recursion, 0
	.set _Z21shuffle_rotate_kernelILj64ElEvPT0_S1_i.has_indirect_call, 0
	.section	.AMDGPU.csdata,"",@progbits
; Kernel info:
; codeLenInByte = 192
; TotalNumSgprs: 11
; NumVgprs: 6
; ScratchSize: 0
; MemoryBound: 0
; FloatMode: 240
; IeeeMode: 1
; LDSByteSize: 512 bytes/workgroup (compile time only)
; SGPRBlocks: 0
; VGPRBlocks: 0
; NumSGPRsForWavesPerEU: 11
; NumVGPRsForWavesPerEU: 6
; NamedBarCnt: 0
; Occupancy: 16
; WaveLimiterHint : 0
; COMPUTE_PGM_RSRC2:SCRATCH_EN: 0
; COMPUTE_PGM_RSRC2:USER_SGPR: 2
; COMPUTE_PGM_RSRC2:TRAP_HANDLER: 0
; COMPUTE_PGM_RSRC2:TGID_X_EN: 1
; COMPUTE_PGM_RSRC2:TGID_Y_EN: 0
; COMPUTE_PGM_RSRC2:TGID_Z_EN: 0
; COMPUTE_PGM_RSRC2:TIDIG_COMP_CNT: 0
	.section	.text._Z21shuffle_rotate_kernelILj377EjEvPT0_S1_i,"axG",@progbits,_Z21shuffle_rotate_kernelILj377EjEvPT0_S1_i,comdat
	.protected	_Z21shuffle_rotate_kernelILj377EjEvPT0_S1_i ; -- Begin function _Z21shuffle_rotate_kernelILj377EjEvPT0_S1_i
	.globl	_Z21shuffle_rotate_kernelILj377EjEvPT0_S1_i
	.p2align	8
	.type	_Z21shuffle_rotate_kernelILj377EjEvPT0_S1_i,@function
_Z21shuffle_rotate_kernelILj377EjEvPT0_S1_i: ; @_Z21shuffle_rotate_kernelILj377EjEvPT0_S1_i
; %bb.0:
	s_bfe_u32 s2, ttmp6, 0x4000c
	s_load_b128 s[4:7], s[0:1], 0x0
	s_add_co_i32 s2, s2, 1
	s_and_b32 s3, ttmp6, 15
	s_mul_i32 s2, ttmp9, s2
	s_getreg_b32 s8, hwreg(HW_REG_IB_STS2, 6, 4)
	s_add_co_i32 s3, s3, s2
	s_cmp_eq_u32 s8, 0
	s_wait_xcnt 0x0
	s_load_b32 s0, s[0:1], 0x10
	s_cselect_b32 s2, ttmp9, s3
	s_delay_alu instid0(SALU_CYCLE_1) | instskip(SKIP_3) | instid1(VALU_DEP_1)
	v_mad_u32 v1, 0x179, s2, v0
	s_wait_kmcnt 0x0
	global_load_b32 v2, v1, s[4:5] scale_offset
	v_dual_add_nc_u32 v3, s0, v0 :: v_dual_lshlrev_b32 v0, 2, v0
	v_add_nc_u32_e32 v4, 0x179, v3
	v_cmp_gt_i32_e32 vcc_lo, 0, v3
	s_delay_alu instid0(VALU_DEP_2) | instskip(SKIP_1) | instid1(VALU_DEP_2)
	v_dual_cndmask_b32 v4, v3, v4 :: v_dual_add_nc_u32 v5, 0xfffffe87, v3
	v_cmp_lt_i32_e32 vcc_lo, 0x178, v3
	v_cndmask_b32_e32 v3, v4, v5, vcc_lo
	s_delay_alu instid0(VALU_DEP_1)
	v_lshlrev_b32_e32 v3, 2, v3
	s_wait_loadcnt 0x0
	ds_store_b32 v0, v2
	s_wait_dscnt 0x0
	s_barrier_signal -1
	s_barrier_wait -1
	ds_load_b32 v0, v3
	s_wait_dscnt 0x0
	global_store_b32 v1, v0, s[6:7] scale_offset
	s_endpgm
	.section	.rodata,"a",@progbits
	.p2align	6, 0x0
	.amdhsa_kernel _Z21shuffle_rotate_kernelILj377EjEvPT0_S1_i
		.amdhsa_group_segment_fixed_size 1508
		.amdhsa_private_segment_fixed_size 0
		.amdhsa_kernarg_size 20
		.amdhsa_user_sgpr_count 2
		.amdhsa_user_sgpr_dispatch_ptr 0
		.amdhsa_user_sgpr_queue_ptr 0
		.amdhsa_user_sgpr_kernarg_segment_ptr 1
		.amdhsa_user_sgpr_dispatch_id 0
		.amdhsa_user_sgpr_kernarg_preload_length 0
		.amdhsa_user_sgpr_kernarg_preload_offset 0
		.amdhsa_user_sgpr_private_segment_size 0
		.amdhsa_wavefront_size32 1
		.amdhsa_uses_dynamic_stack 0
		.amdhsa_enable_private_segment 0
		.amdhsa_system_sgpr_workgroup_id_x 1
		.amdhsa_system_sgpr_workgroup_id_y 0
		.amdhsa_system_sgpr_workgroup_id_z 0
		.amdhsa_system_sgpr_workgroup_info 0
		.amdhsa_system_vgpr_workitem_id 0
		.amdhsa_next_free_vgpr 6
		.amdhsa_next_free_sgpr 9
		.amdhsa_named_barrier_count 0
		.amdhsa_reserve_vcc 1
		.amdhsa_float_round_mode_32 0
		.amdhsa_float_round_mode_16_64 0
		.amdhsa_float_denorm_mode_32 3
		.amdhsa_float_denorm_mode_16_64 3
		.amdhsa_fp16_overflow 0
		.amdhsa_memory_ordered 1
		.amdhsa_forward_progress 1
		.amdhsa_inst_pref_size 2
		.amdhsa_round_robin_scheduling 0
		.amdhsa_exception_fp_ieee_invalid_op 0
		.amdhsa_exception_fp_denorm_src 0
		.amdhsa_exception_fp_ieee_div_zero 0
		.amdhsa_exception_fp_ieee_overflow 0
		.amdhsa_exception_fp_ieee_underflow 0
		.amdhsa_exception_fp_ieee_inexact 0
		.amdhsa_exception_int_div_zero 0
	.end_amdhsa_kernel
	.section	.text._Z21shuffle_rotate_kernelILj377EjEvPT0_S1_i,"axG",@progbits,_Z21shuffle_rotate_kernelILj377EjEvPT0_S1_i,comdat
.Lfunc_end23:
	.size	_Z21shuffle_rotate_kernelILj377EjEvPT0_S1_i, .Lfunc_end23-_Z21shuffle_rotate_kernelILj377EjEvPT0_S1_i
                                        ; -- End function
	.set _Z21shuffle_rotate_kernelILj377EjEvPT0_S1_i.num_vgpr, 6
	.set _Z21shuffle_rotate_kernelILj377EjEvPT0_S1_i.num_agpr, 0
	.set _Z21shuffle_rotate_kernelILj377EjEvPT0_S1_i.numbered_sgpr, 9
	.set _Z21shuffle_rotate_kernelILj377EjEvPT0_S1_i.num_named_barrier, 0
	.set _Z21shuffle_rotate_kernelILj377EjEvPT0_S1_i.private_seg_size, 0
	.set _Z21shuffle_rotate_kernelILj377EjEvPT0_S1_i.uses_vcc, 1
	.set _Z21shuffle_rotate_kernelILj377EjEvPT0_S1_i.uses_flat_scratch, 0
	.set _Z21shuffle_rotate_kernelILj377EjEvPT0_S1_i.has_dyn_sized_stack, 0
	.set _Z21shuffle_rotate_kernelILj377EjEvPT0_S1_i.has_recursion, 0
	.set _Z21shuffle_rotate_kernelILj377EjEvPT0_S1_i.has_indirect_call, 0
	.section	.AMDGPU.csdata,"",@progbits
; Kernel info:
; codeLenInByte = 200
; TotalNumSgprs: 11
; NumVgprs: 6
; ScratchSize: 0
; MemoryBound: 0
; FloatMode: 240
; IeeeMode: 1
; LDSByteSize: 1508 bytes/workgroup (compile time only)
; SGPRBlocks: 0
; VGPRBlocks: 0
; NumSGPRsForWavesPerEU: 11
; NumVGPRsForWavesPerEU: 6
; NamedBarCnt: 0
; Occupancy: 16
; WaveLimiterHint : 0
; COMPUTE_PGM_RSRC2:SCRATCH_EN: 0
; COMPUTE_PGM_RSRC2:USER_SGPR: 2
; COMPUTE_PGM_RSRC2:TRAP_HANDLER: 0
; COMPUTE_PGM_RSRC2:TGID_X_EN: 1
; COMPUTE_PGM_RSRC2:TGID_Y_EN: 0
; COMPUTE_PGM_RSRC2:TGID_Z_EN: 0
; COMPUTE_PGM_RSRC2:TIDIG_COMP_CNT: 0
	.section	.text._Z21shuffle_rotate_kernelILj256EjEvPT0_S1_i,"axG",@progbits,_Z21shuffle_rotate_kernelILj256EjEvPT0_S1_i,comdat
	.protected	_Z21shuffle_rotate_kernelILj256EjEvPT0_S1_i ; -- Begin function _Z21shuffle_rotate_kernelILj256EjEvPT0_S1_i
	.globl	_Z21shuffle_rotate_kernelILj256EjEvPT0_S1_i
	.p2align	8
	.type	_Z21shuffle_rotate_kernelILj256EjEvPT0_S1_i,@function
_Z21shuffle_rotate_kernelILj256EjEvPT0_S1_i: ; @_Z21shuffle_rotate_kernelILj256EjEvPT0_S1_i
; %bb.0:
	s_load_b128 s[4:7], s[0:1], 0x0
	s_bfe_u32 s2, ttmp6, 0x4000c
	s_and_b32 s3, ttmp6, 15
	s_add_co_i32 s2, s2, 1
	s_getreg_b32 s8, hwreg(HW_REG_IB_STS2, 6, 4)
	s_mul_i32 s2, ttmp9, s2
	s_wait_xcnt 0x0
	s_load_b32 s0, s[0:1], 0x10
	s_add_co_i32 s3, s3, s2
	s_cmp_eq_u32 s8, 0
	s_cselect_b32 s2, ttmp9, s3
	s_delay_alu instid0(SALU_CYCLE_1) | instskip(SKIP_4) | instid1(VALU_DEP_1)
	v_lshl_or_b32 v1, s2, 8, v0
	s_wait_kmcnt 0x0
	global_load_b32 v2, v1, s[4:5] scale_offset
	v_dual_add_nc_u32 v3, s0, v0 :: v_dual_lshlrev_b32 v0, 2, v0
	s_lshl_b32 s0, s0, 2
	v_lshrrev_b32_e32 v4, 23, v3
	v_cmp_gt_i32_e32 vcc_lo, 0x100, v3
	s_delay_alu instid0(VALU_DEP_2) | instskip(NEXT) | instid1(VALU_DEP_1)
	v_and_b32_e32 v4, 0x100, v4
	v_cndmask_b32_e32 v3, 0xffffff00, v4, vcc_lo
	s_delay_alu instid0(VALU_DEP_1) | instskip(NEXT) | instid1(VALU_DEP_1)
	v_lshlrev_b32_e32 v3, 2, v3
	v_add3_u32 v3, v0, s0, v3
	s_wait_loadcnt 0x0
	ds_store_b32 v0, v2
	s_wait_dscnt 0x0
	s_barrier_signal -1
	s_barrier_wait -1
	ds_load_b32 v0, v3
	s_wait_dscnt 0x0
	global_store_b32 v1, v0, s[6:7] scale_offset
	s_endpgm
	.section	.rodata,"a",@progbits
	.p2align	6, 0x0
	.amdhsa_kernel _Z21shuffle_rotate_kernelILj256EjEvPT0_S1_i
		.amdhsa_group_segment_fixed_size 1024
		.amdhsa_private_segment_fixed_size 0
		.amdhsa_kernarg_size 20
		.amdhsa_user_sgpr_count 2
		.amdhsa_user_sgpr_dispatch_ptr 0
		.amdhsa_user_sgpr_queue_ptr 0
		.amdhsa_user_sgpr_kernarg_segment_ptr 1
		.amdhsa_user_sgpr_dispatch_id 0
		.amdhsa_user_sgpr_kernarg_preload_length 0
		.amdhsa_user_sgpr_kernarg_preload_offset 0
		.amdhsa_user_sgpr_private_segment_size 0
		.amdhsa_wavefront_size32 1
		.amdhsa_uses_dynamic_stack 0
		.amdhsa_enable_private_segment 0
		.amdhsa_system_sgpr_workgroup_id_x 1
		.amdhsa_system_sgpr_workgroup_id_y 0
		.amdhsa_system_sgpr_workgroup_id_z 0
		.amdhsa_system_sgpr_workgroup_info 0
		.amdhsa_system_vgpr_workitem_id 0
		.amdhsa_next_free_vgpr 5
		.amdhsa_next_free_sgpr 9
		.amdhsa_named_barrier_count 0
		.amdhsa_reserve_vcc 1
		.amdhsa_float_round_mode_32 0
		.amdhsa_float_round_mode_16_64 0
		.amdhsa_float_denorm_mode_32 3
		.amdhsa_float_denorm_mode_16_64 3
		.amdhsa_fp16_overflow 0
		.amdhsa_memory_ordered 1
		.amdhsa_forward_progress 1
		.amdhsa_inst_pref_size 2
		.amdhsa_round_robin_scheduling 0
		.amdhsa_exception_fp_ieee_invalid_op 0
		.amdhsa_exception_fp_denorm_src 0
		.amdhsa_exception_fp_ieee_div_zero 0
		.amdhsa_exception_fp_ieee_overflow 0
		.amdhsa_exception_fp_ieee_underflow 0
		.amdhsa_exception_fp_ieee_inexact 0
		.amdhsa_exception_int_div_zero 0
	.end_amdhsa_kernel
	.section	.text._Z21shuffle_rotate_kernelILj256EjEvPT0_S1_i,"axG",@progbits,_Z21shuffle_rotate_kernelILj256EjEvPT0_S1_i,comdat
.Lfunc_end24:
	.size	_Z21shuffle_rotate_kernelILj256EjEvPT0_S1_i, .Lfunc_end24-_Z21shuffle_rotate_kernelILj256EjEvPT0_S1_i
                                        ; -- End function
	.set _Z21shuffle_rotate_kernelILj256EjEvPT0_S1_i.num_vgpr, 5
	.set _Z21shuffle_rotate_kernelILj256EjEvPT0_S1_i.num_agpr, 0
	.set _Z21shuffle_rotate_kernelILj256EjEvPT0_S1_i.numbered_sgpr, 9
	.set _Z21shuffle_rotate_kernelILj256EjEvPT0_S1_i.num_named_barrier, 0
	.set _Z21shuffle_rotate_kernelILj256EjEvPT0_S1_i.private_seg_size, 0
	.set _Z21shuffle_rotate_kernelILj256EjEvPT0_S1_i.uses_vcc, 1
	.set _Z21shuffle_rotate_kernelILj256EjEvPT0_S1_i.uses_flat_scratch, 0
	.set _Z21shuffle_rotate_kernelILj256EjEvPT0_S1_i.has_dyn_sized_stack, 0
	.set _Z21shuffle_rotate_kernelILj256EjEvPT0_S1_i.has_recursion, 0
	.set _Z21shuffle_rotate_kernelILj256EjEvPT0_S1_i.has_indirect_call, 0
	.section	.AMDGPU.csdata,"",@progbits
; Kernel info:
; codeLenInByte = 200
; TotalNumSgprs: 11
; NumVgprs: 5
; ScratchSize: 0
; MemoryBound: 0
; FloatMode: 240
; IeeeMode: 1
; LDSByteSize: 1024 bytes/workgroup (compile time only)
; SGPRBlocks: 0
; VGPRBlocks: 0
; NumSGPRsForWavesPerEU: 11
; NumVGPRsForWavesPerEU: 5
; NamedBarCnt: 0
; Occupancy: 16
; WaveLimiterHint : 0
; COMPUTE_PGM_RSRC2:SCRATCH_EN: 0
; COMPUTE_PGM_RSRC2:USER_SGPR: 2
; COMPUTE_PGM_RSRC2:TRAP_HANDLER: 0
; COMPUTE_PGM_RSRC2:TGID_X_EN: 1
; COMPUTE_PGM_RSRC2:TGID_Y_EN: 0
; COMPUTE_PGM_RSRC2:TGID_Z_EN: 0
; COMPUTE_PGM_RSRC2:TIDIG_COMP_CNT: 0
	.section	.text._Z21shuffle_rotate_kernelILj64EjEvPT0_S1_i,"axG",@progbits,_Z21shuffle_rotate_kernelILj64EjEvPT0_S1_i,comdat
	.protected	_Z21shuffle_rotate_kernelILj64EjEvPT0_S1_i ; -- Begin function _Z21shuffle_rotate_kernelILj64EjEvPT0_S1_i
	.globl	_Z21shuffle_rotate_kernelILj64EjEvPT0_S1_i
	.p2align	8
	.type	_Z21shuffle_rotate_kernelILj64EjEvPT0_S1_i,@function
_Z21shuffle_rotate_kernelILj64EjEvPT0_S1_i: ; @_Z21shuffle_rotate_kernelILj64EjEvPT0_S1_i
; %bb.0:
	s_load_b128 s[4:7], s[0:1], 0x0
	s_bfe_u32 s2, ttmp6, 0x4000c
	s_and_b32 s3, ttmp6, 15
	s_add_co_i32 s2, s2, 1
	s_getreg_b32 s8, hwreg(HW_REG_IB_STS2, 6, 4)
	s_mul_i32 s2, ttmp9, s2
	s_wait_xcnt 0x0
	s_load_b32 s0, s[0:1], 0x10
	s_add_co_i32 s3, s3, s2
	s_cmp_eq_u32 s8, 0
	s_cselect_b32 s2, ttmp9, s3
	s_delay_alu instid0(SALU_CYCLE_1) | instskip(SKIP_4) | instid1(VALU_DEP_1)
	v_lshl_or_b32 v1, s2, 6, v0
	s_wait_kmcnt 0x0
	global_load_b32 v2, v1, s[4:5] scale_offset
	v_dual_add_nc_u32 v3, s0, v0 :: v_dual_lshlrev_b32 v0, 2, v0
	s_lshl_b32 s0, s0, 2
	v_lshrrev_b32_e32 v4, 25, v3
	v_cmp_gt_i32_e32 vcc_lo, 64, v3
	s_delay_alu instid0(VALU_DEP_2) | instskip(NEXT) | instid1(VALU_DEP_1)
	v_and_b32_e32 v4, 64, v4
	v_cndmask_b32_e32 v3, 0xffffffc0, v4, vcc_lo
	s_delay_alu instid0(VALU_DEP_1) | instskip(NEXT) | instid1(VALU_DEP_1)
	v_lshlrev_b32_e32 v3, 2, v3
	v_add3_u32 v3, v0, s0, v3
	s_wait_loadcnt 0x0
	ds_store_b32 v0, v2
	s_wait_dscnt 0x0
	s_barrier_signal -1
	s_barrier_wait -1
	ds_load_b32 v0, v3
	s_wait_dscnt 0x0
	global_store_b32 v1, v0, s[6:7] scale_offset
	s_endpgm
	.section	.rodata,"a",@progbits
	.p2align	6, 0x0
	.amdhsa_kernel _Z21shuffle_rotate_kernelILj64EjEvPT0_S1_i
		.amdhsa_group_segment_fixed_size 256
		.amdhsa_private_segment_fixed_size 0
		.amdhsa_kernarg_size 20
		.amdhsa_user_sgpr_count 2
		.amdhsa_user_sgpr_dispatch_ptr 0
		.amdhsa_user_sgpr_queue_ptr 0
		.amdhsa_user_sgpr_kernarg_segment_ptr 1
		.amdhsa_user_sgpr_dispatch_id 0
		.amdhsa_user_sgpr_kernarg_preload_length 0
		.amdhsa_user_sgpr_kernarg_preload_offset 0
		.amdhsa_user_sgpr_private_segment_size 0
		.amdhsa_wavefront_size32 1
		.amdhsa_uses_dynamic_stack 0
		.amdhsa_enable_private_segment 0
		.amdhsa_system_sgpr_workgroup_id_x 1
		.amdhsa_system_sgpr_workgroup_id_y 0
		.amdhsa_system_sgpr_workgroup_id_z 0
		.amdhsa_system_sgpr_workgroup_info 0
		.amdhsa_system_vgpr_workitem_id 0
		.amdhsa_next_free_vgpr 5
		.amdhsa_next_free_sgpr 9
		.amdhsa_named_barrier_count 0
		.amdhsa_reserve_vcc 1
		.amdhsa_float_round_mode_32 0
		.amdhsa_float_round_mode_16_64 0
		.amdhsa_float_denorm_mode_32 3
		.amdhsa_float_denorm_mode_16_64 3
		.amdhsa_fp16_overflow 0
		.amdhsa_memory_ordered 1
		.amdhsa_forward_progress 1
		.amdhsa_inst_pref_size 2
		.amdhsa_round_robin_scheduling 0
		.amdhsa_exception_fp_ieee_invalid_op 0
		.amdhsa_exception_fp_denorm_src 0
		.amdhsa_exception_fp_ieee_div_zero 0
		.amdhsa_exception_fp_ieee_overflow 0
		.amdhsa_exception_fp_ieee_underflow 0
		.amdhsa_exception_fp_ieee_inexact 0
		.amdhsa_exception_int_div_zero 0
	.end_amdhsa_kernel
	.section	.text._Z21shuffle_rotate_kernelILj64EjEvPT0_S1_i,"axG",@progbits,_Z21shuffle_rotate_kernelILj64EjEvPT0_S1_i,comdat
.Lfunc_end25:
	.size	_Z21shuffle_rotate_kernelILj64EjEvPT0_S1_i, .Lfunc_end25-_Z21shuffle_rotate_kernelILj64EjEvPT0_S1_i
                                        ; -- End function
	.set _Z21shuffle_rotate_kernelILj64EjEvPT0_S1_i.num_vgpr, 5
	.set _Z21shuffle_rotate_kernelILj64EjEvPT0_S1_i.num_agpr, 0
	.set _Z21shuffle_rotate_kernelILj64EjEvPT0_S1_i.numbered_sgpr, 9
	.set _Z21shuffle_rotate_kernelILj64EjEvPT0_S1_i.num_named_barrier, 0
	.set _Z21shuffle_rotate_kernelILj64EjEvPT0_S1_i.private_seg_size, 0
	.set _Z21shuffle_rotate_kernelILj64EjEvPT0_S1_i.uses_vcc, 1
	.set _Z21shuffle_rotate_kernelILj64EjEvPT0_S1_i.uses_flat_scratch, 0
	.set _Z21shuffle_rotate_kernelILj64EjEvPT0_S1_i.has_dyn_sized_stack, 0
	.set _Z21shuffle_rotate_kernelILj64EjEvPT0_S1_i.has_recursion, 0
	.set _Z21shuffle_rotate_kernelILj64EjEvPT0_S1_i.has_indirect_call, 0
	.section	.AMDGPU.csdata,"",@progbits
; Kernel info:
; codeLenInByte = 192
; TotalNumSgprs: 11
; NumVgprs: 5
; ScratchSize: 0
; MemoryBound: 0
; FloatMode: 240
; IeeeMode: 1
; LDSByteSize: 256 bytes/workgroup (compile time only)
; SGPRBlocks: 0
; VGPRBlocks: 0
; NumSGPRsForWavesPerEU: 11
; NumVGPRsForWavesPerEU: 5
; NamedBarCnt: 0
; Occupancy: 16
; WaveLimiterHint : 0
; COMPUTE_PGM_RSRC2:SCRATCH_EN: 0
; COMPUTE_PGM_RSRC2:USER_SGPR: 2
; COMPUTE_PGM_RSRC2:TRAP_HANDLER: 0
; COMPUTE_PGM_RSRC2:TGID_X_EN: 1
; COMPUTE_PGM_RSRC2:TGID_Y_EN: 0
; COMPUTE_PGM_RSRC2:TGID_Z_EN: 0
; COMPUTE_PGM_RSRC2:TIDIG_COMP_CNT: 0
	.section	.text._Z21shuffle_rotate_kernelILj255EiEvPT0_S1_i,"axG",@progbits,_Z21shuffle_rotate_kernelILj255EiEvPT0_S1_i,comdat
	.protected	_Z21shuffle_rotate_kernelILj255EiEvPT0_S1_i ; -- Begin function _Z21shuffle_rotate_kernelILj255EiEvPT0_S1_i
	.globl	_Z21shuffle_rotate_kernelILj255EiEvPT0_S1_i
	.p2align	8
	.type	_Z21shuffle_rotate_kernelILj255EiEvPT0_S1_i,@function
_Z21shuffle_rotate_kernelILj255EiEvPT0_S1_i: ; @_Z21shuffle_rotate_kernelILj255EiEvPT0_S1_i
; %bb.0:
	s_bfe_u32 s2, ttmp6, 0x4000c
	s_load_b128 s[4:7], s[0:1], 0x0
	s_add_co_i32 s2, s2, 1
	s_and_b32 s3, ttmp6, 15
	s_mul_i32 s2, ttmp9, s2
	s_getreg_b32 s8, hwreg(HW_REG_IB_STS2, 6, 4)
	s_add_co_i32 s3, s3, s2
	s_cmp_eq_u32 s8, 0
	s_wait_xcnt 0x0
	s_load_b32 s0, s[0:1], 0x10
	s_cselect_b32 s2, ttmp9, s3
	s_delay_alu instid0(SALU_CYCLE_1) | instskip(SKIP_3) | instid1(VALU_DEP_1)
	v_mad_u32 v1, 0xff, s2, v0
	s_wait_kmcnt 0x0
	global_load_b32 v2, v1, s[4:5] scale_offset
	v_dual_add_nc_u32 v3, s0, v0 :: v_dual_lshlrev_b32 v0, 2, v0
	v_add_nc_u32_e32 v4, 0xff, v3
	v_cmp_gt_i32_e32 vcc_lo, 0, v3
	s_delay_alu instid0(VALU_DEP_2) | instskip(SKIP_1) | instid1(VALU_DEP_2)
	v_dual_cndmask_b32 v4, v3, v4 :: v_dual_add_nc_u32 v5, 0xffffff01, v3
	v_cmp_lt_i32_e32 vcc_lo, 0xfe, v3
	v_cndmask_b32_e32 v3, v4, v5, vcc_lo
	s_delay_alu instid0(VALU_DEP_1)
	v_lshlrev_b32_e32 v3, 2, v3
	s_wait_loadcnt 0x0
	ds_store_b32 v0, v2
	s_wait_dscnt 0x0
	s_barrier_signal -1
	s_barrier_wait -1
	ds_load_b32 v0, v3
	s_wait_dscnt 0x0
	global_store_b32 v1, v0, s[6:7] scale_offset
	s_endpgm
	.section	.rodata,"a",@progbits
	.p2align	6, 0x0
	.amdhsa_kernel _Z21shuffle_rotate_kernelILj255EiEvPT0_S1_i
		.amdhsa_group_segment_fixed_size 1020
		.amdhsa_private_segment_fixed_size 0
		.amdhsa_kernarg_size 20
		.amdhsa_user_sgpr_count 2
		.amdhsa_user_sgpr_dispatch_ptr 0
		.amdhsa_user_sgpr_queue_ptr 0
		.amdhsa_user_sgpr_kernarg_segment_ptr 1
		.amdhsa_user_sgpr_dispatch_id 0
		.amdhsa_user_sgpr_kernarg_preload_length 0
		.amdhsa_user_sgpr_kernarg_preload_offset 0
		.amdhsa_user_sgpr_private_segment_size 0
		.amdhsa_wavefront_size32 1
		.amdhsa_uses_dynamic_stack 0
		.amdhsa_enable_private_segment 0
		.amdhsa_system_sgpr_workgroup_id_x 1
		.amdhsa_system_sgpr_workgroup_id_y 0
		.amdhsa_system_sgpr_workgroup_id_z 0
		.amdhsa_system_sgpr_workgroup_info 0
		.amdhsa_system_vgpr_workitem_id 0
		.amdhsa_next_free_vgpr 6
		.amdhsa_next_free_sgpr 9
		.amdhsa_named_barrier_count 0
		.amdhsa_reserve_vcc 1
		.amdhsa_float_round_mode_32 0
		.amdhsa_float_round_mode_16_64 0
		.amdhsa_float_denorm_mode_32 3
		.amdhsa_float_denorm_mode_16_64 3
		.amdhsa_fp16_overflow 0
		.amdhsa_memory_ordered 1
		.amdhsa_forward_progress 1
		.amdhsa_inst_pref_size 2
		.amdhsa_round_robin_scheduling 0
		.amdhsa_exception_fp_ieee_invalid_op 0
		.amdhsa_exception_fp_denorm_src 0
		.amdhsa_exception_fp_ieee_div_zero 0
		.amdhsa_exception_fp_ieee_overflow 0
		.amdhsa_exception_fp_ieee_underflow 0
		.amdhsa_exception_fp_ieee_inexact 0
		.amdhsa_exception_int_div_zero 0
	.end_amdhsa_kernel
	.section	.text._Z21shuffle_rotate_kernelILj255EiEvPT0_S1_i,"axG",@progbits,_Z21shuffle_rotate_kernelILj255EiEvPT0_S1_i,comdat
.Lfunc_end26:
	.size	_Z21shuffle_rotate_kernelILj255EiEvPT0_S1_i, .Lfunc_end26-_Z21shuffle_rotate_kernelILj255EiEvPT0_S1_i
                                        ; -- End function
	.set _Z21shuffle_rotate_kernelILj255EiEvPT0_S1_i.num_vgpr, 6
	.set _Z21shuffle_rotate_kernelILj255EiEvPT0_S1_i.num_agpr, 0
	.set _Z21shuffle_rotate_kernelILj255EiEvPT0_S1_i.numbered_sgpr, 9
	.set _Z21shuffle_rotate_kernelILj255EiEvPT0_S1_i.num_named_barrier, 0
	.set _Z21shuffle_rotate_kernelILj255EiEvPT0_S1_i.private_seg_size, 0
	.set _Z21shuffle_rotate_kernelILj255EiEvPT0_S1_i.uses_vcc, 1
	.set _Z21shuffle_rotate_kernelILj255EiEvPT0_S1_i.uses_flat_scratch, 0
	.set _Z21shuffle_rotate_kernelILj255EiEvPT0_S1_i.has_dyn_sized_stack, 0
	.set _Z21shuffle_rotate_kernelILj255EiEvPT0_S1_i.has_recursion, 0
	.set _Z21shuffle_rotate_kernelILj255EiEvPT0_S1_i.has_indirect_call, 0
	.section	.AMDGPU.csdata,"",@progbits
; Kernel info:
; codeLenInByte = 200
; TotalNumSgprs: 11
; NumVgprs: 6
; ScratchSize: 0
; MemoryBound: 0
; FloatMode: 240
; IeeeMode: 1
; LDSByteSize: 1020 bytes/workgroup (compile time only)
; SGPRBlocks: 0
; VGPRBlocks: 0
; NumSGPRsForWavesPerEU: 11
; NumVGPRsForWavesPerEU: 6
; NamedBarCnt: 0
; Occupancy: 16
; WaveLimiterHint : 0
; COMPUTE_PGM_RSRC2:SCRATCH_EN: 0
; COMPUTE_PGM_RSRC2:USER_SGPR: 2
; COMPUTE_PGM_RSRC2:TRAP_HANDLER: 0
; COMPUTE_PGM_RSRC2:TGID_X_EN: 1
; COMPUTE_PGM_RSRC2:TGID_Y_EN: 0
; COMPUTE_PGM_RSRC2:TGID_Z_EN: 0
; COMPUTE_PGM_RSRC2:TIDIG_COMP_CNT: 0
	.section	.text._Z21shuffle_rotate_kernelILj162EiEvPT0_S1_i,"axG",@progbits,_Z21shuffle_rotate_kernelILj162EiEvPT0_S1_i,comdat
	.protected	_Z21shuffle_rotate_kernelILj162EiEvPT0_S1_i ; -- Begin function _Z21shuffle_rotate_kernelILj162EiEvPT0_S1_i
	.globl	_Z21shuffle_rotate_kernelILj162EiEvPT0_S1_i
	.p2align	8
	.type	_Z21shuffle_rotate_kernelILj162EiEvPT0_S1_i,@function
_Z21shuffle_rotate_kernelILj162EiEvPT0_S1_i: ; @_Z21shuffle_rotate_kernelILj162EiEvPT0_S1_i
; %bb.0:
	s_bfe_u32 s2, ttmp6, 0x4000c
	s_load_b128 s[4:7], s[0:1], 0x0
	s_add_co_i32 s2, s2, 1
	s_and_b32 s3, ttmp6, 15
	s_mul_i32 s2, ttmp9, s2
	s_getreg_b32 s8, hwreg(HW_REG_IB_STS2, 6, 4)
	s_add_co_i32 s3, s3, s2
	s_cmp_eq_u32 s8, 0
	s_wait_xcnt 0x0
	s_load_b32 s0, s[0:1], 0x10
	s_cselect_b32 s2, ttmp9, s3
	s_delay_alu instid0(SALU_CYCLE_1) | instskip(SKIP_3) | instid1(VALU_DEP_1)
	v_mad_u32 v1, 0xa2, s2, v0
	s_wait_kmcnt 0x0
	global_load_b32 v2, v1, s[4:5] scale_offset
	v_dual_add_nc_u32 v3, s0, v0 :: v_dual_lshlrev_b32 v0, 2, v0
	v_add_nc_u32_e32 v4, 0xa2, v3
	v_cmp_gt_i32_e32 vcc_lo, 0, v3
	s_delay_alu instid0(VALU_DEP_2) | instskip(SKIP_1) | instid1(VALU_DEP_2)
	v_dual_cndmask_b32 v4, v3, v4 :: v_dual_add_nc_u32 v5, 0xffffff5e, v3
	v_cmp_lt_i32_e32 vcc_lo, 0xa1, v3
	v_cndmask_b32_e32 v3, v4, v5, vcc_lo
	s_delay_alu instid0(VALU_DEP_1)
	v_lshlrev_b32_e32 v3, 2, v3
	s_wait_loadcnt 0x0
	ds_store_b32 v0, v2
	s_wait_dscnt 0x0
	s_barrier_signal -1
	s_barrier_wait -1
	ds_load_b32 v0, v3
	s_wait_dscnt 0x0
	global_store_b32 v1, v0, s[6:7] scale_offset
	s_endpgm
	.section	.rodata,"a",@progbits
	.p2align	6, 0x0
	.amdhsa_kernel _Z21shuffle_rotate_kernelILj162EiEvPT0_S1_i
		.amdhsa_group_segment_fixed_size 648
		.amdhsa_private_segment_fixed_size 0
		.amdhsa_kernarg_size 20
		.amdhsa_user_sgpr_count 2
		.amdhsa_user_sgpr_dispatch_ptr 0
		.amdhsa_user_sgpr_queue_ptr 0
		.amdhsa_user_sgpr_kernarg_segment_ptr 1
		.amdhsa_user_sgpr_dispatch_id 0
		.amdhsa_user_sgpr_kernarg_preload_length 0
		.amdhsa_user_sgpr_kernarg_preload_offset 0
		.amdhsa_user_sgpr_private_segment_size 0
		.amdhsa_wavefront_size32 1
		.amdhsa_uses_dynamic_stack 0
		.amdhsa_enable_private_segment 0
		.amdhsa_system_sgpr_workgroup_id_x 1
		.amdhsa_system_sgpr_workgroup_id_y 0
		.amdhsa_system_sgpr_workgroup_id_z 0
		.amdhsa_system_sgpr_workgroup_info 0
		.amdhsa_system_vgpr_workitem_id 0
		.amdhsa_next_free_vgpr 6
		.amdhsa_next_free_sgpr 9
		.amdhsa_named_barrier_count 0
		.amdhsa_reserve_vcc 1
		.amdhsa_float_round_mode_32 0
		.amdhsa_float_round_mode_16_64 0
		.amdhsa_float_denorm_mode_32 3
		.amdhsa_float_denorm_mode_16_64 3
		.amdhsa_fp16_overflow 0
		.amdhsa_memory_ordered 1
		.amdhsa_forward_progress 1
		.amdhsa_inst_pref_size 2
		.amdhsa_round_robin_scheduling 0
		.amdhsa_exception_fp_ieee_invalid_op 0
		.amdhsa_exception_fp_denorm_src 0
		.amdhsa_exception_fp_ieee_div_zero 0
		.amdhsa_exception_fp_ieee_overflow 0
		.amdhsa_exception_fp_ieee_underflow 0
		.amdhsa_exception_fp_ieee_inexact 0
		.amdhsa_exception_int_div_zero 0
	.end_amdhsa_kernel
	.section	.text._Z21shuffle_rotate_kernelILj162EiEvPT0_S1_i,"axG",@progbits,_Z21shuffle_rotate_kernelILj162EiEvPT0_S1_i,comdat
.Lfunc_end27:
	.size	_Z21shuffle_rotate_kernelILj162EiEvPT0_S1_i, .Lfunc_end27-_Z21shuffle_rotate_kernelILj162EiEvPT0_S1_i
                                        ; -- End function
	.set _Z21shuffle_rotate_kernelILj162EiEvPT0_S1_i.num_vgpr, 6
	.set _Z21shuffle_rotate_kernelILj162EiEvPT0_S1_i.num_agpr, 0
	.set _Z21shuffle_rotate_kernelILj162EiEvPT0_S1_i.numbered_sgpr, 9
	.set _Z21shuffle_rotate_kernelILj162EiEvPT0_S1_i.num_named_barrier, 0
	.set _Z21shuffle_rotate_kernelILj162EiEvPT0_S1_i.private_seg_size, 0
	.set _Z21shuffle_rotate_kernelILj162EiEvPT0_S1_i.uses_vcc, 1
	.set _Z21shuffle_rotate_kernelILj162EiEvPT0_S1_i.uses_flat_scratch, 0
	.set _Z21shuffle_rotate_kernelILj162EiEvPT0_S1_i.has_dyn_sized_stack, 0
	.set _Z21shuffle_rotate_kernelILj162EiEvPT0_S1_i.has_recursion, 0
	.set _Z21shuffle_rotate_kernelILj162EiEvPT0_S1_i.has_indirect_call, 0
	.section	.AMDGPU.csdata,"",@progbits
; Kernel info:
; codeLenInByte = 200
; TotalNumSgprs: 11
; NumVgprs: 6
; ScratchSize: 0
; MemoryBound: 0
; FloatMode: 240
; IeeeMode: 1
; LDSByteSize: 648 bytes/workgroup (compile time only)
; SGPRBlocks: 0
; VGPRBlocks: 0
; NumSGPRsForWavesPerEU: 11
; NumVGPRsForWavesPerEU: 6
; NamedBarCnt: 0
; Occupancy: 16
; WaveLimiterHint : 0
; COMPUTE_PGM_RSRC2:SCRATCH_EN: 0
; COMPUTE_PGM_RSRC2:USER_SGPR: 2
; COMPUTE_PGM_RSRC2:TRAP_HANDLER: 0
; COMPUTE_PGM_RSRC2:TGID_X_EN: 1
; COMPUTE_PGM_RSRC2:TGID_Y_EN: 0
; COMPUTE_PGM_RSRC2:TGID_Z_EN: 0
; COMPUTE_PGM_RSRC2:TIDIG_COMP_CNT: 0
	.section	.text._Z21shuffle_rotate_kernelILj37EiEvPT0_S1_i,"axG",@progbits,_Z21shuffle_rotate_kernelILj37EiEvPT0_S1_i,comdat
	.protected	_Z21shuffle_rotate_kernelILj37EiEvPT0_S1_i ; -- Begin function _Z21shuffle_rotate_kernelILj37EiEvPT0_S1_i
	.globl	_Z21shuffle_rotate_kernelILj37EiEvPT0_S1_i
	.p2align	8
	.type	_Z21shuffle_rotate_kernelILj37EiEvPT0_S1_i,@function
_Z21shuffle_rotate_kernelILj37EiEvPT0_S1_i: ; @_Z21shuffle_rotate_kernelILj37EiEvPT0_S1_i
; %bb.0:
	s_bfe_u32 s2, ttmp6, 0x4000c
	s_load_b128 s[4:7], s[0:1], 0x0
	s_add_co_i32 s2, s2, 1
	s_and_b32 s3, ttmp6, 15
	s_mul_i32 s2, ttmp9, s2
	s_getreg_b32 s8, hwreg(HW_REG_IB_STS2, 6, 4)
	s_add_co_i32 s3, s3, s2
	s_cmp_eq_u32 s8, 0
	s_wait_xcnt 0x0
	s_load_b32 s0, s[0:1], 0x10
	s_cselect_b32 s2, ttmp9, s3
	s_delay_alu instid0(SALU_CYCLE_1) | instskip(SKIP_3) | instid1(VALU_DEP_1)
	v_mad_u32 v1, s2, 37, v0
	s_wait_kmcnt 0x0
	global_load_b32 v2, v1, s[4:5] scale_offset
	v_dual_add_nc_u32 v3, s0, v0 :: v_dual_lshlrev_b32 v0, 2, v0
	v_add_nc_u32_e32 v4, 37, v3
	v_cmp_gt_i32_e32 vcc_lo, 0, v3
	v_subrev_nc_u32_e32 v5, 37, v3
	s_delay_alu instid0(VALU_DEP_3) | instskip(SKIP_1) | instid1(VALU_DEP_2)
	v_cndmask_b32_e32 v4, v3, v4, vcc_lo
	v_cmp_lt_i32_e32 vcc_lo, 36, v3
	v_cndmask_b32_e32 v3, v4, v5, vcc_lo
	s_delay_alu instid0(VALU_DEP_1)
	v_lshlrev_b32_e32 v3, 2, v3
	s_wait_loadcnt 0x0
	ds_store_b32 v0, v2
	s_wait_dscnt 0x0
	s_barrier_signal -1
	s_barrier_wait -1
	ds_load_b32 v0, v3
	s_wait_dscnt 0x0
	global_store_b32 v1, v0, s[6:7] scale_offset
	s_endpgm
	.section	.rodata,"a",@progbits
	.p2align	6, 0x0
	.amdhsa_kernel _Z21shuffle_rotate_kernelILj37EiEvPT0_S1_i
		.amdhsa_group_segment_fixed_size 148
		.amdhsa_private_segment_fixed_size 0
		.amdhsa_kernarg_size 20
		.amdhsa_user_sgpr_count 2
		.amdhsa_user_sgpr_dispatch_ptr 0
		.amdhsa_user_sgpr_queue_ptr 0
		.amdhsa_user_sgpr_kernarg_segment_ptr 1
		.amdhsa_user_sgpr_dispatch_id 0
		.amdhsa_user_sgpr_kernarg_preload_length 0
		.amdhsa_user_sgpr_kernarg_preload_offset 0
		.amdhsa_user_sgpr_private_segment_size 0
		.amdhsa_wavefront_size32 1
		.amdhsa_uses_dynamic_stack 0
		.amdhsa_enable_private_segment 0
		.amdhsa_system_sgpr_workgroup_id_x 1
		.amdhsa_system_sgpr_workgroup_id_y 0
		.amdhsa_system_sgpr_workgroup_id_z 0
		.amdhsa_system_sgpr_workgroup_info 0
		.amdhsa_system_vgpr_workitem_id 0
		.amdhsa_next_free_vgpr 6
		.amdhsa_next_free_sgpr 9
		.amdhsa_named_barrier_count 0
		.amdhsa_reserve_vcc 1
		.amdhsa_float_round_mode_32 0
		.amdhsa_float_round_mode_16_64 0
		.amdhsa_float_denorm_mode_32 3
		.amdhsa_float_denorm_mode_16_64 3
		.amdhsa_fp16_overflow 0
		.amdhsa_memory_ordered 1
		.amdhsa_forward_progress 1
		.amdhsa_inst_pref_size 2
		.amdhsa_round_robin_scheduling 0
		.amdhsa_exception_fp_ieee_invalid_op 0
		.amdhsa_exception_fp_denorm_src 0
		.amdhsa_exception_fp_ieee_div_zero 0
		.amdhsa_exception_fp_ieee_overflow 0
		.amdhsa_exception_fp_ieee_underflow 0
		.amdhsa_exception_fp_ieee_inexact 0
		.amdhsa_exception_int_div_zero 0
	.end_amdhsa_kernel
	.section	.text._Z21shuffle_rotate_kernelILj37EiEvPT0_S1_i,"axG",@progbits,_Z21shuffle_rotate_kernelILj37EiEvPT0_S1_i,comdat
.Lfunc_end28:
	.size	_Z21shuffle_rotate_kernelILj37EiEvPT0_S1_i, .Lfunc_end28-_Z21shuffle_rotate_kernelILj37EiEvPT0_S1_i
                                        ; -- End function
	.set _Z21shuffle_rotate_kernelILj37EiEvPT0_S1_i.num_vgpr, 6
	.set _Z21shuffle_rotate_kernelILj37EiEvPT0_S1_i.num_agpr, 0
	.set _Z21shuffle_rotate_kernelILj37EiEvPT0_S1_i.numbered_sgpr, 9
	.set _Z21shuffle_rotate_kernelILj37EiEvPT0_S1_i.num_named_barrier, 0
	.set _Z21shuffle_rotate_kernelILj37EiEvPT0_S1_i.private_seg_size, 0
	.set _Z21shuffle_rotate_kernelILj37EiEvPT0_S1_i.uses_vcc, 1
	.set _Z21shuffle_rotate_kernelILj37EiEvPT0_S1_i.uses_flat_scratch, 0
	.set _Z21shuffle_rotate_kernelILj37EiEvPT0_S1_i.has_dyn_sized_stack, 0
	.set _Z21shuffle_rotate_kernelILj37EiEvPT0_S1_i.has_recursion, 0
	.set _Z21shuffle_rotate_kernelILj37EiEvPT0_S1_i.has_indirect_call, 0
	.section	.AMDGPU.csdata,"",@progbits
; Kernel info:
; codeLenInByte = 184
; TotalNumSgprs: 11
; NumVgprs: 6
; ScratchSize: 0
; MemoryBound: 0
; FloatMode: 240
; IeeeMode: 1
; LDSByteSize: 148 bytes/workgroup (compile time only)
; SGPRBlocks: 0
; VGPRBlocks: 0
; NumSGPRsForWavesPerEU: 11
; NumVGPRsForWavesPerEU: 6
; NamedBarCnt: 0
; Occupancy: 16
; WaveLimiterHint : 0
; COMPUTE_PGM_RSRC2:SCRATCH_EN: 0
; COMPUTE_PGM_RSRC2:USER_SGPR: 2
; COMPUTE_PGM_RSRC2:TRAP_HANDLER: 0
; COMPUTE_PGM_RSRC2:TGID_X_EN: 1
; COMPUTE_PGM_RSRC2:TGID_Y_EN: 0
; COMPUTE_PGM_RSRC2:TGID_Z_EN: 0
; COMPUTE_PGM_RSRC2:TIDIG_COMP_CNT: 0
	.section	.text._Z21shuffle_rotate_kernelILj65EiEvPT0_S1_i,"axG",@progbits,_Z21shuffle_rotate_kernelILj65EiEvPT0_S1_i,comdat
	.protected	_Z21shuffle_rotate_kernelILj65EiEvPT0_S1_i ; -- Begin function _Z21shuffle_rotate_kernelILj65EiEvPT0_S1_i
	.globl	_Z21shuffle_rotate_kernelILj65EiEvPT0_S1_i
	.p2align	8
	.type	_Z21shuffle_rotate_kernelILj65EiEvPT0_S1_i,@function
_Z21shuffle_rotate_kernelILj65EiEvPT0_S1_i: ; @_Z21shuffle_rotate_kernelILj65EiEvPT0_S1_i
; %bb.0:
	s_bfe_u32 s2, ttmp6, 0x4000c
	s_load_b128 s[4:7], s[0:1], 0x0
	s_add_co_i32 s2, s2, 1
	s_and_b32 s3, ttmp6, 15
	s_mul_i32 s2, ttmp9, s2
	s_getreg_b32 s8, hwreg(HW_REG_IB_STS2, 6, 4)
	s_add_co_i32 s3, s3, s2
	s_cmp_eq_u32 s8, 0
	s_wait_xcnt 0x0
	s_load_b32 s0, s[0:1], 0x10
	s_cselect_b32 s2, ttmp9, s3
	s_delay_alu instid0(SALU_CYCLE_1) | instskip(SKIP_3) | instid1(VALU_DEP_1)
	v_mad_u32 v1, 0x41, s2, v0
	s_wait_kmcnt 0x0
	global_load_b32 v2, v1, s[4:5] scale_offset
	v_dual_add_nc_u32 v3, s0, v0 :: v_dual_lshlrev_b32 v0, 2, v0
	v_add_nc_u32_e32 v4, 0x41, v3
	v_cmp_gt_i32_e32 vcc_lo, 0, v3
	s_delay_alu instid0(VALU_DEP_2) | instskip(SKIP_1) | instid1(VALU_DEP_2)
	v_dual_cndmask_b32 v4, v3, v4 :: v_dual_add_nc_u32 v5, 0xffffffbf, v3
	v_cmp_lt_i32_e32 vcc_lo, 64, v3
	v_cndmask_b32_e32 v3, v4, v5, vcc_lo
	s_delay_alu instid0(VALU_DEP_1)
	v_lshlrev_b32_e32 v3, 2, v3
	s_wait_loadcnt 0x0
	ds_store_b32 v0, v2
	s_wait_dscnt 0x0
	s_barrier_signal -1
	s_barrier_wait -1
	ds_load_b32 v0, v3
	s_wait_dscnt 0x0
	global_store_b32 v1, v0, s[6:7] scale_offset
	s_endpgm
	.section	.rodata,"a",@progbits
	.p2align	6, 0x0
	.amdhsa_kernel _Z21shuffle_rotate_kernelILj65EiEvPT0_S1_i
		.amdhsa_group_segment_fixed_size 260
		.amdhsa_private_segment_fixed_size 0
		.amdhsa_kernarg_size 20
		.amdhsa_user_sgpr_count 2
		.amdhsa_user_sgpr_dispatch_ptr 0
		.amdhsa_user_sgpr_queue_ptr 0
		.amdhsa_user_sgpr_kernarg_segment_ptr 1
		.amdhsa_user_sgpr_dispatch_id 0
		.amdhsa_user_sgpr_kernarg_preload_length 0
		.amdhsa_user_sgpr_kernarg_preload_offset 0
		.amdhsa_user_sgpr_private_segment_size 0
		.amdhsa_wavefront_size32 1
		.amdhsa_uses_dynamic_stack 0
		.amdhsa_enable_private_segment 0
		.amdhsa_system_sgpr_workgroup_id_x 1
		.amdhsa_system_sgpr_workgroup_id_y 0
		.amdhsa_system_sgpr_workgroup_id_z 0
		.amdhsa_system_sgpr_workgroup_info 0
		.amdhsa_system_vgpr_workitem_id 0
		.amdhsa_next_free_vgpr 6
		.amdhsa_next_free_sgpr 9
		.amdhsa_named_barrier_count 0
		.amdhsa_reserve_vcc 1
		.amdhsa_float_round_mode_32 0
		.amdhsa_float_round_mode_16_64 0
		.amdhsa_float_denorm_mode_32 3
		.amdhsa_float_denorm_mode_16_64 3
		.amdhsa_fp16_overflow 0
		.amdhsa_memory_ordered 1
		.amdhsa_forward_progress 1
		.amdhsa_inst_pref_size 2
		.amdhsa_round_robin_scheduling 0
		.amdhsa_exception_fp_ieee_invalid_op 0
		.amdhsa_exception_fp_denorm_src 0
		.amdhsa_exception_fp_ieee_div_zero 0
		.amdhsa_exception_fp_ieee_overflow 0
		.amdhsa_exception_fp_ieee_underflow 0
		.amdhsa_exception_fp_ieee_inexact 0
		.amdhsa_exception_int_div_zero 0
	.end_amdhsa_kernel
	.section	.text._Z21shuffle_rotate_kernelILj65EiEvPT0_S1_i,"axG",@progbits,_Z21shuffle_rotate_kernelILj65EiEvPT0_S1_i,comdat
.Lfunc_end29:
	.size	_Z21shuffle_rotate_kernelILj65EiEvPT0_S1_i, .Lfunc_end29-_Z21shuffle_rotate_kernelILj65EiEvPT0_S1_i
                                        ; -- End function
	.set _Z21shuffle_rotate_kernelILj65EiEvPT0_S1_i.num_vgpr, 6
	.set _Z21shuffle_rotate_kernelILj65EiEvPT0_S1_i.num_agpr, 0
	.set _Z21shuffle_rotate_kernelILj65EiEvPT0_S1_i.numbered_sgpr, 9
	.set _Z21shuffle_rotate_kernelILj65EiEvPT0_S1_i.num_named_barrier, 0
	.set _Z21shuffle_rotate_kernelILj65EiEvPT0_S1_i.private_seg_size, 0
	.set _Z21shuffle_rotate_kernelILj65EiEvPT0_S1_i.uses_vcc, 1
	.set _Z21shuffle_rotate_kernelILj65EiEvPT0_S1_i.uses_flat_scratch, 0
	.set _Z21shuffle_rotate_kernelILj65EiEvPT0_S1_i.has_dyn_sized_stack, 0
	.set _Z21shuffle_rotate_kernelILj65EiEvPT0_S1_i.has_recursion, 0
	.set _Z21shuffle_rotate_kernelILj65EiEvPT0_S1_i.has_indirect_call, 0
	.section	.AMDGPU.csdata,"",@progbits
; Kernel info:
; codeLenInByte = 196
; TotalNumSgprs: 11
; NumVgprs: 6
; ScratchSize: 0
; MemoryBound: 0
; FloatMode: 240
; IeeeMode: 1
; LDSByteSize: 260 bytes/workgroup (compile time only)
; SGPRBlocks: 0
; VGPRBlocks: 0
; NumSGPRsForWavesPerEU: 11
; NumVGPRsForWavesPerEU: 6
; NamedBarCnt: 0
; Occupancy: 16
; WaveLimiterHint : 0
; COMPUTE_PGM_RSRC2:SCRATCH_EN: 0
; COMPUTE_PGM_RSRC2:USER_SGPR: 2
; COMPUTE_PGM_RSRC2:TRAP_HANDLER: 0
; COMPUTE_PGM_RSRC2:TGID_X_EN: 1
; COMPUTE_PGM_RSRC2:TGID_Y_EN: 0
; COMPUTE_PGM_RSRC2:TGID_Z_EN: 0
; COMPUTE_PGM_RSRC2:TIDIG_COMP_CNT: 0
	.section	.text._Z21shuffle_rotate_kernelILj512EiEvPT0_S1_i,"axG",@progbits,_Z21shuffle_rotate_kernelILj512EiEvPT0_S1_i,comdat
	.protected	_Z21shuffle_rotate_kernelILj512EiEvPT0_S1_i ; -- Begin function _Z21shuffle_rotate_kernelILj512EiEvPT0_S1_i
	.globl	_Z21shuffle_rotate_kernelILj512EiEvPT0_S1_i
	.p2align	8
	.type	_Z21shuffle_rotate_kernelILj512EiEvPT0_S1_i,@function
_Z21shuffle_rotate_kernelILj512EiEvPT0_S1_i: ; @_Z21shuffle_rotate_kernelILj512EiEvPT0_S1_i
; %bb.0:
	s_load_b128 s[4:7], s[0:1], 0x0
	s_bfe_u32 s2, ttmp6, 0x4000c
	s_and_b32 s3, ttmp6, 15
	s_add_co_i32 s2, s2, 1
	s_getreg_b32 s8, hwreg(HW_REG_IB_STS2, 6, 4)
	s_mul_i32 s2, ttmp9, s2
	s_wait_xcnt 0x0
	s_load_b32 s0, s[0:1], 0x10
	s_add_co_i32 s3, s3, s2
	s_cmp_eq_u32 s8, 0
	s_cselect_b32 s2, ttmp9, s3
	s_delay_alu instid0(SALU_CYCLE_1) | instskip(SKIP_4) | instid1(VALU_DEP_1)
	v_lshl_or_b32 v1, s2, 9, v0
	s_wait_kmcnt 0x0
	global_load_b32 v2, v1, s[4:5] scale_offset
	v_dual_add_nc_u32 v3, s0, v0 :: v_dual_lshlrev_b32 v0, 2, v0
	s_lshl_b32 s0, s0, 2
	v_lshrrev_b32_e32 v4, 22, v3
	v_cmp_gt_i32_e32 vcc_lo, 0x200, v3
	s_delay_alu instid0(VALU_DEP_2) | instskip(NEXT) | instid1(VALU_DEP_1)
	v_and_b32_e32 v4, 0x200, v4
	v_cndmask_b32_e32 v3, 0xfffffe00, v4, vcc_lo
	s_delay_alu instid0(VALU_DEP_1) | instskip(NEXT) | instid1(VALU_DEP_1)
	v_lshlrev_b32_e32 v3, 2, v3
	v_add3_u32 v3, v0, s0, v3
	s_wait_loadcnt 0x0
	ds_store_b32 v0, v2
	s_wait_dscnt 0x0
	s_barrier_signal -1
	s_barrier_wait -1
	ds_load_b32 v0, v3
	s_wait_dscnt 0x0
	global_store_b32 v1, v0, s[6:7] scale_offset
	s_endpgm
	.section	.rodata,"a",@progbits
	.p2align	6, 0x0
	.amdhsa_kernel _Z21shuffle_rotate_kernelILj512EiEvPT0_S1_i
		.amdhsa_group_segment_fixed_size 2048
		.amdhsa_private_segment_fixed_size 0
		.amdhsa_kernarg_size 20
		.amdhsa_user_sgpr_count 2
		.amdhsa_user_sgpr_dispatch_ptr 0
		.amdhsa_user_sgpr_queue_ptr 0
		.amdhsa_user_sgpr_kernarg_segment_ptr 1
		.amdhsa_user_sgpr_dispatch_id 0
		.amdhsa_user_sgpr_kernarg_preload_length 0
		.amdhsa_user_sgpr_kernarg_preload_offset 0
		.amdhsa_user_sgpr_private_segment_size 0
		.amdhsa_wavefront_size32 1
		.amdhsa_uses_dynamic_stack 0
		.amdhsa_enable_private_segment 0
		.amdhsa_system_sgpr_workgroup_id_x 1
		.amdhsa_system_sgpr_workgroup_id_y 0
		.amdhsa_system_sgpr_workgroup_id_z 0
		.amdhsa_system_sgpr_workgroup_info 0
		.amdhsa_system_vgpr_workitem_id 0
		.amdhsa_next_free_vgpr 5
		.amdhsa_next_free_sgpr 9
		.amdhsa_named_barrier_count 0
		.amdhsa_reserve_vcc 1
		.amdhsa_float_round_mode_32 0
		.amdhsa_float_round_mode_16_64 0
		.amdhsa_float_denorm_mode_32 3
		.amdhsa_float_denorm_mode_16_64 3
		.amdhsa_fp16_overflow 0
		.amdhsa_memory_ordered 1
		.amdhsa_forward_progress 1
		.amdhsa_inst_pref_size 2
		.amdhsa_round_robin_scheduling 0
		.amdhsa_exception_fp_ieee_invalid_op 0
		.amdhsa_exception_fp_denorm_src 0
		.amdhsa_exception_fp_ieee_div_zero 0
		.amdhsa_exception_fp_ieee_overflow 0
		.amdhsa_exception_fp_ieee_underflow 0
		.amdhsa_exception_fp_ieee_inexact 0
		.amdhsa_exception_int_div_zero 0
	.end_amdhsa_kernel
	.section	.text._Z21shuffle_rotate_kernelILj512EiEvPT0_S1_i,"axG",@progbits,_Z21shuffle_rotate_kernelILj512EiEvPT0_S1_i,comdat
.Lfunc_end30:
	.size	_Z21shuffle_rotate_kernelILj512EiEvPT0_S1_i, .Lfunc_end30-_Z21shuffle_rotate_kernelILj512EiEvPT0_S1_i
                                        ; -- End function
	.set _Z21shuffle_rotate_kernelILj512EiEvPT0_S1_i.num_vgpr, 5
	.set _Z21shuffle_rotate_kernelILj512EiEvPT0_S1_i.num_agpr, 0
	.set _Z21shuffle_rotate_kernelILj512EiEvPT0_S1_i.numbered_sgpr, 9
	.set _Z21shuffle_rotate_kernelILj512EiEvPT0_S1_i.num_named_barrier, 0
	.set _Z21shuffle_rotate_kernelILj512EiEvPT0_S1_i.private_seg_size, 0
	.set _Z21shuffle_rotate_kernelILj512EiEvPT0_S1_i.uses_vcc, 1
	.set _Z21shuffle_rotate_kernelILj512EiEvPT0_S1_i.uses_flat_scratch, 0
	.set _Z21shuffle_rotate_kernelILj512EiEvPT0_S1_i.has_dyn_sized_stack, 0
	.set _Z21shuffle_rotate_kernelILj512EiEvPT0_S1_i.has_recursion, 0
	.set _Z21shuffle_rotate_kernelILj512EiEvPT0_S1_i.has_indirect_call, 0
	.section	.AMDGPU.csdata,"",@progbits
; Kernel info:
; codeLenInByte = 200
; TotalNumSgprs: 11
; NumVgprs: 5
; ScratchSize: 0
; MemoryBound: 0
; FloatMode: 240
; IeeeMode: 1
; LDSByteSize: 2048 bytes/workgroup (compile time only)
; SGPRBlocks: 0
; VGPRBlocks: 0
; NumSGPRsForWavesPerEU: 11
; NumVGPRsForWavesPerEU: 5
; NamedBarCnt: 0
; Occupancy: 16
; WaveLimiterHint : 0
; COMPUTE_PGM_RSRC2:SCRATCH_EN: 0
; COMPUTE_PGM_RSRC2:USER_SGPR: 2
; COMPUTE_PGM_RSRC2:TRAP_HANDLER: 0
; COMPUTE_PGM_RSRC2:TGID_X_EN: 1
; COMPUTE_PGM_RSRC2:TGID_Y_EN: 0
; COMPUTE_PGM_RSRC2:TGID_Z_EN: 0
; COMPUTE_PGM_RSRC2:TIDIG_COMP_CNT: 0
	.section	.text._Z21shuffle_rotate_kernelILj256EiEvPT0_S1_i,"axG",@progbits,_Z21shuffle_rotate_kernelILj256EiEvPT0_S1_i,comdat
	.protected	_Z21shuffle_rotate_kernelILj256EiEvPT0_S1_i ; -- Begin function _Z21shuffle_rotate_kernelILj256EiEvPT0_S1_i
	.globl	_Z21shuffle_rotate_kernelILj256EiEvPT0_S1_i
	.p2align	8
	.type	_Z21shuffle_rotate_kernelILj256EiEvPT0_S1_i,@function
_Z21shuffle_rotate_kernelILj256EiEvPT0_S1_i: ; @_Z21shuffle_rotate_kernelILj256EiEvPT0_S1_i
; %bb.0:
	s_load_b128 s[4:7], s[0:1], 0x0
	s_bfe_u32 s2, ttmp6, 0x4000c
	s_and_b32 s3, ttmp6, 15
	s_add_co_i32 s2, s2, 1
	s_getreg_b32 s8, hwreg(HW_REG_IB_STS2, 6, 4)
	s_mul_i32 s2, ttmp9, s2
	s_wait_xcnt 0x0
	s_load_b32 s0, s[0:1], 0x10
	s_add_co_i32 s3, s3, s2
	s_cmp_eq_u32 s8, 0
	s_cselect_b32 s2, ttmp9, s3
	s_delay_alu instid0(SALU_CYCLE_1) | instskip(SKIP_4) | instid1(VALU_DEP_1)
	v_lshl_or_b32 v1, s2, 8, v0
	s_wait_kmcnt 0x0
	global_load_b32 v2, v1, s[4:5] scale_offset
	v_dual_add_nc_u32 v3, s0, v0 :: v_dual_lshlrev_b32 v0, 2, v0
	s_lshl_b32 s0, s0, 2
	v_lshrrev_b32_e32 v4, 23, v3
	v_cmp_gt_i32_e32 vcc_lo, 0x100, v3
	s_delay_alu instid0(VALU_DEP_2) | instskip(NEXT) | instid1(VALU_DEP_1)
	v_and_b32_e32 v4, 0x100, v4
	v_cndmask_b32_e32 v3, 0xffffff00, v4, vcc_lo
	s_delay_alu instid0(VALU_DEP_1) | instskip(NEXT) | instid1(VALU_DEP_1)
	v_lshlrev_b32_e32 v3, 2, v3
	v_add3_u32 v3, v0, s0, v3
	s_wait_loadcnt 0x0
	ds_store_b32 v0, v2
	s_wait_dscnt 0x0
	s_barrier_signal -1
	s_barrier_wait -1
	ds_load_b32 v0, v3
	s_wait_dscnt 0x0
	global_store_b32 v1, v0, s[6:7] scale_offset
	s_endpgm
	.section	.rodata,"a",@progbits
	.p2align	6, 0x0
	.amdhsa_kernel _Z21shuffle_rotate_kernelILj256EiEvPT0_S1_i
		.amdhsa_group_segment_fixed_size 1024
		.amdhsa_private_segment_fixed_size 0
		.amdhsa_kernarg_size 20
		.amdhsa_user_sgpr_count 2
		.amdhsa_user_sgpr_dispatch_ptr 0
		.amdhsa_user_sgpr_queue_ptr 0
		.amdhsa_user_sgpr_kernarg_segment_ptr 1
		.amdhsa_user_sgpr_dispatch_id 0
		.amdhsa_user_sgpr_kernarg_preload_length 0
		.amdhsa_user_sgpr_kernarg_preload_offset 0
		.amdhsa_user_sgpr_private_segment_size 0
		.amdhsa_wavefront_size32 1
		.amdhsa_uses_dynamic_stack 0
		.amdhsa_enable_private_segment 0
		.amdhsa_system_sgpr_workgroup_id_x 1
		.amdhsa_system_sgpr_workgroup_id_y 0
		.amdhsa_system_sgpr_workgroup_id_z 0
		.amdhsa_system_sgpr_workgroup_info 0
		.amdhsa_system_vgpr_workitem_id 0
		.amdhsa_next_free_vgpr 5
		.amdhsa_next_free_sgpr 9
		.amdhsa_named_barrier_count 0
		.amdhsa_reserve_vcc 1
		.amdhsa_float_round_mode_32 0
		.amdhsa_float_round_mode_16_64 0
		.amdhsa_float_denorm_mode_32 3
		.amdhsa_float_denorm_mode_16_64 3
		.amdhsa_fp16_overflow 0
		.amdhsa_memory_ordered 1
		.amdhsa_forward_progress 1
		.amdhsa_inst_pref_size 2
		.amdhsa_round_robin_scheduling 0
		.amdhsa_exception_fp_ieee_invalid_op 0
		.amdhsa_exception_fp_denorm_src 0
		.amdhsa_exception_fp_ieee_div_zero 0
		.amdhsa_exception_fp_ieee_overflow 0
		.amdhsa_exception_fp_ieee_underflow 0
		.amdhsa_exception_fp_ieee_inexact 0
		.amdhsa_exception_int_div_zero 0
	.end_amdhsa_kernel
	.section	.text._Z21shuffle_rotate_kernelILj256EiEvPT0_S1_i,"axG",@progbits,_Z21shuffle_rotate_kernelILj256EiEvPT0_S1_i,comdat
.Lfunc_end31:
	.size	_Z21shuffle_rotate_kernelILj256EiEvPT0_S1_i, .Lfunc_end31-_Z21shuffle_rotate_kernelILj256EiEvPT0_S1_i
                                        ; -- End function
	.set _Z21shuffle_rotate_kernelILj256EiEvPT0_S1_i.num_vgpr, 5
	.set _Z21shuffle_rotate_kernelILj256EiEvPT0_S1_i.num_agpr, 0
	.set _Z21shuffle_rotate_kernelILj256EiEvPT0_S1_i.numbered_sgpr, 9
	.set _Z21shuffle_rotate_kernelILj256EiEvPT0_S1_i.num_named_barrier, 0
	.set _Z21shuffle_rotate_kernelILj256EiEvPT0_S1_i.private_seg_size, 0
	.set _Z21shuffle_rotate_kernelILj256EiEvPT0_S1_i.uses_vcc, 1
	.set _Z21shuffle_rotate_kernelILj256EiEvPT0_S1_i.uses_flat_scratch, 0
	.set _Z21shuffle_rotate_kernelILj256EiEvPT0_S1_i.has_dyn_sized_stack, 0
	.set _Z21shuffle_rotate_kernelILj256EiEvPT0_S1_i.has_recursion, 0
	.set _Z21shuffle_rotate_kernelILj256EiEvPT0_S1_i.has_indirect_call, 0
	.section	.AMDGPU.csdata,"",@progbits
; Kernel info:
; codeLenInByte = 200
; TotalNumSgprs: 11
; NumVgprs: 5
; ScratchSize: 0
; MemoryBound: 0
; FloatMode: 240
; IeeeMode: 1
; LDSByteSize: 1024 bytes/workgroup (compile time only)
; SGPRBlocks: 0
; VGPRBlocks: 0
; NumSGPRsForWavesPerEU: 11
; NumVGPRsForWavesPerEU: 5
; NamedBarCnt: 0
; Occupancy: 16
; WaveLimiterHint : 0
; COMPUTE_PGM_RSRC2:SCRATCH_EN: 0
; COMPUTE_PGM_RSRC2:USER_SGPR: 2
; COMPUTE_PGM_RSRC2:TRAP_HANDLER: 0
; COMPUTE_PGM_RSRC2:TGID_X_EN: 1
; COMPUTE_PGM_RSRC2:TGID_Y_EN: 0
; COMPUTE_PGM_RSRC2:TGID_Z_EN: 0
; COMPUTE_PGM_RSRC2:TIDIG_COMP_CNT: 0
	.section	.text._Z21shuffle_rotate_kernelILj128EiEvPT0_S1_i,"axG",@progbits,_Z21shuffle_rotate_kernelILj128EiEvPT0_S1_i,comdat
	.protected	_Z21shuffle_rotate_kernelILj128EiEvPT0_S1_i ; -- Begin function _Z21shuffle_rotate_kernelILj128EiEvPT0_S1_i
	.globl	_Z21shuffle_rotate_kernelILj128EiEvPT0_S1_i
	.p2align	8
	.type	_Z21shuffle_rotate_kernelILj128EiEvPT0_S1_i,@function
_Z21shuffle_rotate_kernelILj128EiEvPT0_S1_i: ; @_Z21shuffle_rotate_kernelILj128EiEvPT0_S1_i
; %bb.0:
	s_load_b128 s[4:7], s[0:1], 0x0
	s_bfe_u32 s2, ttmp6, 0x4000c
	s_and_b32 s3, ttmp6, 15
	s_add_co_i32 s2, s2, 1
	s_getreg_b32 s8, hwreg(HW_REG_IB_STS2, 6, 4)
	s_mul_i32 s2, ttmp9, s2
	s_wait_xcnt 0x0
	s_load_b32 s0, s[0:1], 0x10
	s_add_co_i32 s3, s3, s2
	s_cmp_eq_u32 s8, 0
	s_cselect_b32 s2, ttmp9, s3
	s_delay_alu instid0(SALU_CYCLE_1) | instskip(SKIP_4) | instid1(VALU_DEP_1)
	v_lshl_or_b32 v1, s2, 7, v0
	s_wait_kmcnt 0x0
	global_load_b32 v2, v1, s[4:5] scale_offset
	v_dual_add_nc_u32 v3, s0, v0 :: v_dual_lshlrev_b32 v0, 2, v0
	s_lshl_b32 s0, s0, 2
	v_lshrrev_b32_e32 v4, 24, v3
	v_cmp_gt_i32_e32 vcc_lo, 0x80, v3
	s_delay_alu instid0(VALU_DEP_2) | instskip(NEXT) | instid1(VALU_DEP_1)
	v_and_b32_e32 v4, 0x80, v4
	v_cndmask_b32_e32 v3, 0xffffff80, v4, vcc_lo
	s_delay_alu instid0(VALU_DEP_1) | instskip(NEXT) | instid1(VALU_DEP_1)
	v_lshlrev_b32_e32 v3, 2, v3
	v_add3_u32 v3, v0, s0, v3
	s_wait_loadcnt 0x0
	ds_store_b32 v0, v2
	s_wait_dscnt 0x0
	s_barrier_signal -1
	s_barrier_wait -1
	ds_load_b32 v0, v3
	s_wait_dscnt 0x0
	global_store_b32 v1, v0, s[6:7] scale_offset
	s_endpgm
	.section	.rodata,"a",@progbits
	.p2align	6, 0x0
	.amdhsa_kernel _Z21shuffle_rotate_kernelILj128EiEvPT0_S1_i
		.amdhsa_group_segment_fixed_size 512
		.amdhsa_private_segment_fixed_size 0
		.amdhsa_kernarg_size 20
		.amdhsa_user_sgpr_count 2
		.amdhsa_user_sgpr_dispatch_ptr 0
		.amdhsa_user_sgpr_queue_ptr 0
		.amdhsa_user_sgpr_kernarg_segment_ptr 1
		.amdhsa_user_sgpr_dispatch_id 0
		.amdhsa_user_sgpr_kernarg_preload_length 0
		.amdhsa_user_sgpr_kernarg_preload_offset 0
		.amdhsa_user_sgpr_private_segment_size 0
		.amdhsa_wavefront_size32 1
		.amdhsa_uses_dynamic_stack 0
		.amdhsa_enable_private_segment 0
		.amdhsa_system_sgpr_workgroup_id_x 1
		.amdhsa_system_sgpr_workgroup_id_y 0
		.amdhsa_system_sgpr_workgroup_id_z 0
		.amdhsa_system_sgpr_workgroup_info 0
		.amdhsa_system_vgpr_workitem_id 0
		.amdhsa_next_free_vgpr 5
		.amdhsa_next_free_sgpr 9
		.amdhsa_named_barrier_count 0
		.amdhsa_reserve_vcc 1
		.amdhsa_float_round_mode_32 0
		.amdhsa_float_round_mode_16_64 0
		.amdhsa_float_denorm_mode_32 3
		.amdhsa_float_denorm_mode_16_64 3
		.amdhsa_fp16_overflow 0
		.amdhsa_memory_ordered 1
		.amdhsa_forward_progress 1
		.amdhsa_inst_pref_size 2
		.amdhsa_round_robin_scheduling 0
		.amdhsa_exception_fp_ieee_invalid_op 0
		.amdhsa_exception_fp_denorm_src 0
		.amdhsa_exception_fp_ieee_div_zero 0
		.amdhsa_exception_fp_ieee_overflow 0
		.amdhsa_exception_fp_ieee_underflow 0
		.amdhsa_exception_fp_ieee_inexact 0
		.amdhsa_exception_int_div_zero 0
	.end_amdhsa_kernel
	.section	.text._Z21shuffle_rotate_kernelILj128EiEvPT0_S1_i,"axG",@progbits,_Z21shuffle_rotate_kernelILj128EiEvPT0_S1_i,comdat
.Lfunc_end32:
	.size	_Z21shuffle_rotate_kernelILj128EiEvPT0_S1_i, .Lfunc_end32-_Z21shuffle_rotate_kernelILj128EiEvPT0_S1_i
                                        ; -- End function
	.set _Z21shuffle_rotate_kernelILj128EiEvPT0_S1_i.num_vgpr, 5
	.set _Z21shuffle_rotate_kernelILj128EiEvPT0_S1_i.num_agpr, 0
	.set _Z21shuffle_rotate_kernelILj128EiEvPT0_S1_i.numbered_sgpr, 9
	.set _Z21shuffle_rotate_kernelILj128EiEvPT0_S1_i.num_named_barrier, 0
	.set _Z21shuffle_rotate_kernelILj128EiEvPT0_S1_i.private_seg_size, 0
	.set _Z21shuffle_rotate_kernelILj128EiEvPT0_S1_i.uses_vcc, 1
	.set _Z21shuffle_rotate_kernelILj128EiEvPT0_S1_i.uses_flat_scratch, 0
	.set _Z21shuffle_rotate_kernelILj128EiEvPT0_S1_i.has_dyn_sized_stack, 0
	.set _Z21shuffle_rotate_kernelILj128EiEvPT0_S1_i.has_recursion, 0
	.set _Z21shuffle_rotate_kernelILj128EiEvPT0_S1_i.has_indirect_call, 0
	.section	.AMDGPU.csdata,"",@progbits
; Kernel info:
; codeLenInByte = 200
; TotalNumSgprs: 11
; NumVgprs: 5
; ScratchSize: 0
; MemoryBound: 0
; FloatMode: 240
; IeeeMode: 1
; LDSByteSize: 512 bytes/workgroup (compile time only)
; SGPRBlocks: 0
; VGPRBlocks: 0
; NumSGPRsForWavesPerEU: 11
; NumVGPRsForWavesPerEU: 5
; NamedBarCnt: 0
; Occupancy: 16
; WaveLimiterHint : 0
; COMPUTE_PGM_RSRC2:SCRATCH_EN: 0
; COMPUTE_PGM_RSRC2:USER_SGPR: 2
; COMPUTE_PGM_RSRC2:TRAP_HANDLER: 0
; COMPUTE_PGM_RSRC2:TGID_X_EN: 1
; COMPUTE_PGM_RSRC2:TGID_Y_EN: 0
; COMPUTE_PGM_RSRC2:TGID_Z_EN: 0
; COMPUTE_PGM_RSRC2:TIDIG_COMP_CNT: 0
	.section	.text._Z21shuffle_rotate_kernelILj64EiEvPT0_S1_i,"axG",@progbits,_Z21shuffle_rotate_kernelILj64EiEvPT0_S1_i,comdat
	.protected	_Z21shuffle_rotate_kernelILj64EiEvPT0_S1_i ; -- Begin function _Z21shuffle_rotate_kernelILj64EiEvPT0_S1_i
	.globl	_Z21shuffle_rotate_kernelILj64EiEvPT0_S1_i
	.p2align	8
	.type	_Z21shuffle_rotate_kernelILj64EiEvPT0_S1_i,@function
_Z21shuffle_rotate_kernelILj64EiEvPT0_S1_i: ; @_Z21shuffle_rotate_kernelILj64EiEvPT0_S1_i
; %bb.0:
	s_load_b128 s[4:7], s[0:1], 0x0
	s_bfe_u32 s2, ttmp6, 0x4000c
	s_and_b32 s3, ttmp6, 15
	s_add_co_i32 s2, s2, 1
	s_getreg_b32 s8, hwreg(HW_REG_IB_STS2, 6, 4)
	s_mul_i32 s2, ttmp9, s2
	s_wait_xcnt 0x0
	s_load_b32 s0, s[0:1], 0x10
	s_add_co_i32 s3, s3, s2
	s_cmp_eq_u32 s8, 0
	s_cselect_b32 s2, ttmp9, s3
	s_delay_alu instid0(SALU_CYCLE_1) | instskip(SKIP_4) | instid1(VALU_DEP_1)
	v_lshl_or_b32 v1, s2, 6, v0
	s_wait_kmcnt 0x0
	global_load_b32 v2, v1, s[4:5] scale_offset
	v_dual_add_nc_u32 v3, s0, v0 :: v_dual_lshlrev_b32 v0, 2, v0
	s_lshl_b32 s0, s0, 2
	v_lshrrev_b32_e32 v4, 25, v3
	v_cmp_gt_i32_e32 vcc_lo, 64, v3
	s_delay_alu instid0(VALU_DEP_2) | instskip(NEXT) | instid1(VALU_DEP_1)
	v_and_b32_e32 v4, 64, v4
	v_cndmask_b32_e32 v3, 0xffffffc0, v4, vcc_lo
	s_delay_alu instid0(VALU_DEP_1) | instskip(NEXT) | instid1(VALU_DEP_1)
	v_lshlrev_b32_e32 v3, 2, v3
	v_add3_u32 v3, v0, s0, v3
	s_wait_loadcnt 0x0
	ds_store_b32 v0, v2
	s_wait_dscnt 0x0
	s_barrier_signal -1
	s_barrier_wait -1
	ds_load_b32 v0, v3
	s_wait_dscnt 0x0
	global_store_b32 v1, v0, s[6:7] scale_offset
	s_endpgm
	.section	.rodata,"a",@progbits
	.p2align	6, 0x0
	.amdhsa_kernel _Z21shuffle_rotate_kernelILj64EiEvPT0_S1_i
		.amdhsa_group_segment_fixed_size 256
		.amdhsa_private_segment_fixed_size 0
		.amdhsa_kernarg_size 20
		.amdhsa_user_sgpr_count 2
		.amdhsa_user_sgpr_dispatch_ptr 0
		.amdhsa_user_sgpr_queue_ptr 0
		.amdhsa_user_sgpr_kernarg_segment_ptr 1
		.amdhsa_user_sgpr_dispatch_id 0
		.amdhsa_user_sgpr_kernarg_preload_length 0
		.amdhsa_user_sgpr_kernarg_preload_offset 0
		.amdhsa_user_sgpr_private_segment_size 0
		.amdhsa_wavefront_size32 1
		.amdhsa_uses_dynamic_stack 0
		.amdhsa_enable_private_segment 0
		.amdhsa_system_sgpr_workgroup_id_x 1
		.amdhsa_system_sgpr_workgroup_id_y 0
		.amdhsa_system_sgpr_workgroup_id_z 0
		.amdhsa_system_sgpr_workgroup_info 0
		.amdhsa_system_vgpr_workitem_id 0
		.amdhsa_next_free_vgpr 5
		.amdhsa_next_free_sgpr 9
		.amdhsa_named_barrier_count 0
		.amdhsa_reserve_vcc 1
		.amdhsa_float_round_mode_32 0
		.amdhsa_float_round_mode_16_64 0
		.amdhsa_float_denorm_mode_32 3
		.amdhsa_float_denorm_mode_16_64 3
		.amdhsa_fp16_overflow 0
		.amdhsa_memory_ordered 1
		.amdhsa_forward_progress 1
		.amdhsa_inst_pref_size 2
		.amdhsa_round_robin_scheduling 0
		.amdhsa_exception_fp_ieee_invalid_op 0
		.amdhsa_exception_fp_denorm_src 0
		.amdhsa_exception_fp_ieee_div_zero 0
		.amdhsa_exception_fp_ieee_overflow 0
		.amdhsa_exception_fp_ieee_underflow 0
		.amdhsa_exception_fp_ieee_inexact 0
		.amdhsa_exception_int_div_zero 0
	.end_amdhsa_kernel
	.section	.text._Z21shuffle_rotate_kernelILj64EiEvPT0_S1_i,"axG",@progbits,_Z21shuffle_rotate_kernelILj64EiEvPT0_S1_i,comdat
.Lfunc_end33:
	.size	_Z21shuffle_rotate_kernelILj64EiEvPT0_S1_i, .Lfunc_end33-_Z21shuffle_rotate_kernelILj64EiEvPT0_S1_i
                                        ; -- End function
	.set _Z21shuffle_rotate_kernelILj64EiEvPT0_S1_i.num_vgpr, 5
	.set _Z21shuffle_rotate_kernelILj64EiEvPT0_S1_i.num_agpr, 0
	.set _Z21shuffle_rotate_kernelILj64EiEvPT0_S1_i.numbered_sgpr, 9
	.set _Z21shuffle_rotate_kernelILj64EiEvPT0_S1_i.num_named_barrier, 0
	.set _Z21shuffle_rotate_kernelILj64EiEvPT0_S1_i.private_seg_size, 0
	.set _Z21shuffle_rotate_kernelILj64EiEvPT0_S1_i.uses_vcc, 1
	.set _Z21shuffle_rotate_kernelILj64EiEvPT0_S1_i.uses_flat_scratch, 0
	.set _Z21shuffle_rotate_kernelILj64EiEvPT0_S1_i.has_dyn_sized_stack, 0
	.set _Z21shuffle_rotate_kernelILj64EiEvPT0_S1_i.has_recursion, 0
	.set _Z21shuffle_rotate_kernelILj64EiEvPT0_S1_i.has_indirect_call, 0
	.section	.AMDGPU.csdata,"",@progbits
; Kernel info:
; codeLenInByte = 192
; TotalNumSgprs: 11
; NumVgprs: 5
; ScratchSize: 0
; MemoryBound: 0
; FloatMode: 240
; IeeeMode: 1
; LDSByteSize: 256 bytes/workgroup (compile time only)
; SGPRBlocks: 0
; VGPRBlocks: 0
; NumSGPRsForWavesPerEU: 11
; NumVGPRsForWavesPerEU: 5
; NamedBarCnt: 0
; Occupancy: 16
; WaveLimiterHint : 0
; COMPUTE_PGM_RSRC2:SCRATCH_EN: 0
; COMPUTE_PGM_RSRC2:USER_SGPR: 2
; COMPUTE_PGM_RSRC2:TRAP_HANDLER: 0
; COMPUTE_PGM_RSRC2:TGID_X_EN: 1
; COMPUTE_PGM_RSRC2:TGID_Y_EN: 0
; COMPUTE_PGM_RSRC2:TGID_Z_EN: 0
; COMPUTE_PGM_RSRC2:TIDIG_COMP_CNT: 0
	.section	.text._Z17shuffle_up_kernelILj32ELj128E12hip_bfloat16EvPT1_S2_,"axG",@progbits,_Z17shuffle_up_kernelILj32ELj128E12hip_bfloat16EvPT1_S2_,comdat
	.protected	_Z17shuffle_up_kernelILj32ELj128E12hip_bfloat16EvPT1_S2_ ; -- Begin function _Z17shuffle_up_kernelILj32ELj128E12hip_bfloat16EvPT1_S2_
	.globl	_Z17shuffle_up_kernelILj32ELj128E12hip_bfloat16EvPT1_S2_
	.p2align	8
	.type	_Z17shuffle_up_kernelILj32ELj128E12hip_bfloat16EvPT1_S2_,@function
_Z17shuffle_up_kernelILj32ELj128E12hip_bfloat16EvPT1_S2_: ; @_Z17shuffle_up_kernelILj32ELj128E12hip_bfloat16EvPT1_S2_
; %bb.0:
	s_bfe_u32 s4, ttmp6, 0x4000c
	s_load_b128 s[0:3], s[0:1], 0x0
	s_add_co_i32 s4, s4, 1
	s_and_b32 s5, ttmp6, 15
	s_mul_i32 s4, ttmp9, s4
	s_getreg_b32 s6, hwreg(HW_REG_IB_STS2, 6, 4)
	v_dual_lshlrev_b32 v1, 7, v0 :: v_dual_mov_b32 v5, 0
	s_add_co_i32 s5, s5, s4
	s_cmp_eq_u32 s6, 0
	s_cselect_b32 s4, ttmp9, s5
	s_delay_alu instid0(VALU_DEP_1) | instid1(SALU_CYCLE_1)
	v_lshl_or_b32 v4, s4, 12, v1
	s_delay_alu instid0(VALU_DEP_1) | instskip(SKIP_1) | instid1(VALU_DEP_1)
	v_lshlrev_b64_e32 v[2:3], 1, v[4:5]
	s_wait_kmcnt 0x0
	v_add_nc_u64_e32 v[6:7], s[0:1], v[2:3]
	global_load_b32 v5, v[6:7], off offset:252
	s_wait_loadcnt 0x0
	s_clause 0x1
	global_store_b16 v4, v5, s[2:3] offset:254 scale_offset
	global_load_u16 v1, v4, s[0:1] offset:250 scale_offset
	s_wait_loadcnt 0x0
	s_clause 0x1
	global_store_b16 v4, v1, s[2:3] offset:252 scale_offset
	global_load_u16 v1, v4, s[0:1] offset:248 scale_offset
	;; [unrolled: 4-line block ×125, first 2 shown]
	s_wait_loadcnt 0x0
	s_clause 0x1
	global_store_b16 v4, v1, s[2:3] offset:4 scale_offset
	global_load_u16 v6, v4, s[0:1] scale_offset
	s_wait_xcnt 0x1
	v_lshlrev_b32_e32 v1, 1, v0
	s_wait_xcnt 0x0
	s_mov_b32 s0, exec_lo
	ds_store_b16_d16_hi v1, v5
	s_wait_loadcnt 0x0
	global_store_b16 v4, v6, s[2:3] offset:2 scale_offset
	; wave barrier
	s_wait_storecnt_dscnt 0x0
	s_wait_xcnt 0x0
	v_cmpx_ne_u32_e32 0, v0
	s_cbranch_execz .LBB34_2
; %bb.1:
	v_add_nc_u32_e32 v0, -2, v1
	ds_load_u16 v4, v0
	v_add_nc_u64_e32 v[0:1], s[2:3], v[2:3]
	s_wait_dscnt 0x0
	global_store_b16 v[0:1], v4, off
.LBB34_2:
	s_endpgm
	.section	.rodata,"a",@progbits
	.p2align	6, 0x0
	.amdhsa_kernel _Z17shuffle_up_kernelILj32ELj128E12hip_bfloat16EvPT1_S2_
		.amdhsa_group_segment_fixed_size 64
		.amdhsa_private_segment_fixed_size 0
		.amdhsa_kernarg_size 16
		.amdhsa_user_sgpr_count 2
		.amdhsa_user_sgpr_dispatch_ptr 0
		.amdhsa_user_sgpr_queue_ptr 0
		.amdhsa_user_sgpr_kernarg_segment_ptr 1
		.amdhsa_user_sgpr_dispatch_id 0
		.amdhsa_user_sgpr_kernarg_preload_length 0
		.amdhsa_user_sgpr_kernarg_preload_offset 0
		.amdhsa_user_sgpr_private_segment_size 0
		.amdhsa_wavefront_size32 1
		.amdhsa_uses_dynamic_stack 0
		.amdhsa_enable_private_segment 0
		.amdhsa_system_sgpr_workgroup_id_x 1
		.amdhsa_system_sgpr_workgroup_id_y 0
		.amdhsa_system_sgpr_workgroup_id_z 0
		.amdhsa_system_sgpr_workgroup_info 0
		.amdhsa_system_vgpr_workitem_id 0
		.amdhsa_next_free_vgpr 8
		.amdhsa_next_free_sgpr 7
		.amdhsa_named_barrier_count 0
		.amdhsa_reserve_vcc 0
		.amdhsa_float_round_mode_32 0
		.amdhsa_float_round_mode_16_64 0
		.amdhsa_float_denorm_mode_32 3
		.amdhsa_float_denorm_mode_16_64 3
		.amdhsa_fp16_overflow 0
		.amdhsa_memory_ordered 1
		.amdhsa_forward_progress 1
		.amdhsa_inst_pref_size 33
		.amdhsa_round_robin_scheduling 0
		.amdhsa_exception_fp_ieee_invalid_op 0
		.amdhsa_exception_fp_denorm_src 0
		.amdhsa_exception_fp_ieee_div_zero 0
		.amdhsa_exception_fp_ieee_overflow 0
		.amdhsa_exception_fp_ieee_underflow 0
		.amdhsa_exception_fp_ieee_inexact 0
		.amdhsa_exception_int_div_zero 0
	.end_amdhsa_kernel
	.section	.text._Z17shuffle_up_kernelILj32ELj128E12hip_bfloat16EvPT1_S2_,"axG",@progbits,_Z17shuffle_up_kernelILj32ELj128E12hip_bfloat16EvPT1_S2_,comdat
.Lfunc_end34:
	.size	_Z17shuffle_up_kernelILj32ELj128E12hip_bfloat16EvPT1_S2_, .Lfunc_end34-_Z17shuffle_up_kernelILj32ELj128E12hip_bfloat16EvPT1_S2_
                                        ; -- End function
	.set _Z17shuffle_up_kernelILj32ELj128E12hip_bfloat16EvPT1_S2_.num_vgpr, 8
	.set _Z17shuffle_up_kernelILj32ELj128E12hip_bfloat16EvPT1_S2_.num_agpr, 0
	.set _Z17shuffle_up_kernelILj32ELj128E12hip_bfloat16EvPT1_S2_.numbered_sgpr, 7
	.set _Z17shuffle_up_kernelILj32ELj128E12hip_bfloat16EvPT1_S2_.num_named_barrier, 0
	.set _Z17shuffle_up_kernelILj32ELj128E12hip_bfloat16EvPT1_S2_.private_seg_size, 0
	.set _Z17shuffle_up_kernelILj32ELj128E12hip_bfloat16EvPT1_S2_.uses_vcc, 0
	.set _Z17shuffle_up_kernelILj32ELj128E12hip_bfloat16EvPT1_S2_.uses_flat_scratch, 0
	.set _Z17shuffle_up_kernelILj32ELj128E12hip_bfloat16EvPT1_S2_.has_dyn_sized_stack, 0
	.set _Z17shuffle_up_kernelILj32ELj128E12hip_bfloat16EvPT1_S2_.has_recursion, 0
	.set _Z17shuffle_up_kernelILj32ELj128E12hip_bfloat16EvPT1_S2_.has_indirect_call, 0
	.section	.AMDGPU.csdata,"",@progbits
; Kernel info:
; codeLenInByte = 4220
; TotalNumSgprs: 7
; NumVgprs: 8
; ScratchSize: 0
; MemoryBound: 1
; FloatMode: 240
; IeeeMode: 1
; LDSByteSize: 64 bytes/workgroup (compile time only)
; SGPRBlocks: 0
; VGPRBlocks: 0
; NumSGPRsForWavesPerEU: 7
; NumVGPRsForWavesPerEU: 8
; NamedBarCnt: 0
; Occupancy: 16
; WaveLimiterHint : 1
; COMPUTE_PGM_RSRC2:SCRATCH_EN: 0
; COMPUTE_PGM_RSRC2:USER_SGPR: 2
; COMPUTE_PGM_RSRC2:TRAP_HANDLER: 0
; COMPUTE_PGM_RSRC2:TGID_X_EN: 1
; COMPUTE_PGM_RSRC2:TGID_Y_EN: 0
; COMPUTE_PGM_RSRC2:TGID_Z_EN: 0
; COMPUTE_PGM_RSRC2:TIDIG_COMP_CNT: 0
	.section	.text._Z17shuffle_up_kernelILj32ELj128E6__halfEvPT1_S2_,"axG",@progbits,_Z17shuffle_up_kernelILj32ELj128E6__halfEvPT1_S2_,comdat
	.protected	_Z17shuffle_up_kernelILj32ELj128E6__halfEvPT1_S2_ ; -- Begin function _Z17shuffle_up_kernelILj32ELj128E6__halfEvPT1_S2_
	.globl	_Z17shuffle_up_kernelILj32ELj128E6__halfEvPT1_S2_
	.p2align	8
	.type	_Z17shuffle_up_kernelILj32ELj128E6__halfEvPT1_S2_,@function
_Z17shuffle_up_kernelILj32ELj128E6__halfEvPT1_S2_: ; @_Z17shuffle_up_kernelILj32ELj128E6__halfEvPT1_S2_
; %bb.0:
	s_bfe_u32 s4, ttmp6, 0x4000c
	s_load_b128 s[0:3], s[0:1], 0x0
	s_add_co_i32 s4, s4, 1
	s_and_b32 s5, ttmp6, 15
	s_mul_i32 s4, ttmp9, s4
	s_getreg_b32 s6, hwreg(HW_REG_IB_STS2, 6, 4)
	v_dual_lshlrev_b32 v1, 7, v0 :: v_dual_mov_b32 v5, 0
	s_add_co_i32 s5, s5, s4
	s_cmp_eq_u32 s6, 0
	s_cselect_b32 s4, ttmp9, s5
	s_delay_alu instid0(VALU_DEP_1) | instid1(SALU_CYCLE_1)
	v_lshl_or_b32 v4, s4, 12, v1
	s_delay_alu instid0(VALU_DEP_1) | instskip(SKIP_1) | instid1(VALU_DEP_1)
	v_lshlrev_b64_e32 v[2:3], 1, v[4:5]
	s_wait_kmcnt 0x0
	v_add_nc_u64_e32 v[6:7], s[0:1], v[2:3]
	global_load_b32 v5, v[6:7], off offset:252
	s_wait_loadcnt 0x0
	s_clause 0x1
	global_store_b16 v4, v5, s[2:3] offset:254 scale_offset
	global_load_u16 v1, v4, s[0:1] offset:250 scale_offset
	s_wait_loadcnt 0x0
	s_clause 0x1
	global_store_b16 v4, v1, s[2:3] offset:252 scale_offset
	global_load_u16 v1, v4, s[0:1] offset:248 scale_offset
	;; [unrolled: 4-line block ×125, first 2 shown]
	s_wait_loadcnt 0x0
	s_clause 0x1
	global_store_b16 v4, v1, s[2:3] offset:4 scale_offset
	global_load_u16 v6, v4, s[0:1] scale_offset
	s_wait_xcnt 0x1
	v_lshlrev_b32_e32 v1, 1, v0
	s_wait_xcnt 0x0
	s_mov_b32 s0, exec_lo
	ds_store_b16_d16_hi v1, v5
	s_wait_loadcnt 0x0
	global_store_b16 v4, v6, s[2:3] offset:2 scale_offset
	; wave barrier
	s_wait_storecnt_dscnt 0x0
	s_wait_xcnt 0x0
	v_cmpx_ne_u32_e32 0, v0
	s_cbranch_execz .LBB35_2
; %bb.1:
	v_add_nc_u32_e32 v0, -2, v1
	ds_load_u16 v4, v0
	v_add_nc_u64_e32 v[0:1], s[2:3], v[2:3]
	s_wait_dscnt 0x0
	global_store_b16 v[0:1], v4, off
.LBB35_2:
	s_endpgm
	.section	.rodata,"a",@progbits
	.p2align	6, 0x0
	.amdhsa_kernel _Z17shuffle_up_kernelILj32ELj128E6__halfEvPT1_S2_
		.amdhsa_group_segment_fixed_size 64
		.amdhsa_private_segment_fixed_size 0
		.amdhsa_kernarg_size 16
		.amdhsa_user_sgpr_count 2
		.amdhsa_user_sgpr_dispatch_ptr 0
		.amdhsa_user_sgpr_queue_ptr 0
		.amdhsa_user_sgpr_kernarg_segment_ptr 1
		.amdhsa_user_sgpr_dispatch_id 0
		.amdhsa_user_sgpr_kernarg_preload_length 0
		.amdhsa_user_sgpr_kernarg_preload_offset 0
		.amdhsa_user_sgpr_private_segment_size 0
		.amdhsa_wavefront_size32 1
		.amdhsa_uses_dynamic_stack 0
		.amdhsa_enable_private_segment 0
		.amdhsa_system_sgpr_workgroup_id_x 1
		.amdhsa_system_sgpr_workgroup_id_y 0
		.amdhsa_system_sgpr_workgroup_id_z 0
		.amdhsa_system_sgpr_workgroup_info 0
		.amdhsa_system_vgpr_workitem_id 0
		.amdhsa_next_free_vgpr 8
		.amdhsa_next_free_sgpr 7
		.amdhsa_named_barrier_count 0
		.amdhsa_reserve_vcc 0
		.amdhsa_float_round_mode_32 0
		.amdhsa_float_round_mode_16_64 0
		.amdhsa_float_denorm_mode_32 3
		.amdhsa_float_denorm_mode_16_64 3
		.amdhsa_fp16_overflow 0
		.amdhsa_memory_ordered 1
		.amdhsa_forward_progress 1
		.amdhsa_inst_pref_size 33
		.amdhsa_round_robin_scheduling 0
		.amdhsa_exception_fp_ieee_invalid_op 0
		.amdhsa_exception_fp_denorm_src 0
		.amdhsa_exception_fp_ieee_div_zero 0
		.amdhsa_exception_fp_ieee_overflow 0
		.amdhsa_exception_fp_ieee_underflow 0
		.amdhsa_exception_fp_ieee_inexact 0
		.amdhsa_exception_int_div_zero 0
	.end_amdhsa_kernel
	.section	.text._Z17shuffle_up_kernelILj32ELj128E6__halfEvPT1_S2_,"axG",@progbits,_Z17shuffle_up_kernelILj32ELj128E6__halfEvPT1_S2_,comdat
.Lfunc_end35:
	.size	_Z17shuffle_up_kernelILj32ELj128E6__halfEvPT1_S2_, .Lfunc_end35-_Z17shuffle_up_kernelILj32ELj128E6__halfEvPT1_S2_
                                        ; -- End function
	.set _Z17shuffle_up_kernelILj32ELj128E6__halfEvPT1_S2_.num_vgpr, 8
	.set _Z17shuffle_up_kernelILj32ELj128E6__halfEvPT1_S2_.num_agpr, 0
	.set _Z17shuffle_up_kernelILj32ELj128E6__halfEvPT1_S2_.numbered_sgpr, 7
	.set _Z17shuffle_up_kernelILj32ELj128E6__halfEvPT1_S2_.num_named_barrier, 0
	.set _Z17shuffle_up_kernelILj32ELj128E6__halfEvPT1_S2_.private_seg_size, 0
	.set _Z17shuffle_up_kernelILj32ELj128E6__halfEvPT1_S2_.uses_vcc, 0
	.set _Z17shuffle_up_kernelILj32ELj128E6__halfEvPT1_S2_.uses_flat_scratch, 0
	.set _Z17shuffle_up_kernelILj32ELj128E6__halfEvPT1_S2_.has_dyn_sized_stack, 0
	.set _Z17shuffle_up_kernelILj32ELj128E6__halfEvPT1_S2_.has_recursion, 0
	.set _Z17shuffle_up_kernelILj32ELj128E6__halfEvPT1_S2_.has_indirect_call, 0
	.section	.AMDGPU.csdata,"",@progbits
; Kernel info:
; codeLenInByte = 4220
; TotalNumSgprs: 7
; NumVgprs: 8
; ScratchSize: 0
; MemoryBound: 1
; FloatMode: 240
; IeeeMode: 1
; LDSByteSize: 64 bytes/workgroup (compile time only)
; SGPRBlocks: 0
; VGPRBlocks: 0
; NumSGPRsForWavesPerEU: 7
; NumVGPRsForWavesPerEU: 8
; NamedBarCnt: 0
; Occupancy: 16
; WaveLimiterHint : 1
; COMPUTE_PGM_RSRC2:SCRATCH_EN: 0
; COMPUTE_PGM_RSRC2:USER_SGPR: 2
; COMPUTE_PGM_RSRC2:TRAP_HANDLER: 0
; COMPUTE_PGM_RSRC2:TGID_X_EN: 1
; COMPUTE_PGM_RSRC2:TGID_Y_EN: 0
; COMPUTE_PGM_RSRC2:TGID_Z_EN: 0
; COMPUTE_PGM_RSRC2:TIDIG_COMP_CNT: 0
	.section	.text._Z17shuffle_up_kernelILj32ELj128EfEvPT1_S1_,"axG",@progbits,_Z17shuffle_up_kernelILj32ELj128EfEvPT1_S1_,comdat
	.protected	_Z17shuffle_up_kernelILj32ELj128EfEvPT1_S1_ ; -- Begin function _Z17shuffle_up_kernelILj32ELj128EfEvPT1_S1_
	.globl	_Z17shuffle_up_kernelILj32ELj128EfEvPT1_S1_
	.p2align	8
	.type	_Z17shuffle_up_kernelILj32ELj128EfEvPT1_S1_,@function
_Z17shuffle_up_kernelILj32ELj128EfEvPT1_S1_: ; @_Z17shuffle_up_kernelILj32ELj128EfEvPT1_S1_
; %bb.0:
	s_bfe_u32 s4, ttmp6, 0x4000c
	s_load_b128 s[0:3], s[0:1], 0x0
	s_add_co_i32 s4, s4, 1
	s_and_b32 s5, ttmp6, 15
	s_mul_i32 s4, ttmp9, s4
	s_getreg_b32 s6, hwreg(HW_REG_IB_STS2, 6, 4)
	v_dual_lshlrev_b32 v1, 7, v0 :: v_dual_mov_b32 v5, 0
	s_add_co_i32 s5, s5, s4
	s_cmp_eq_u32 s6, 0
	s_cselect_b32 s4, ttmp9, s5
	s_delay_alu instid0(VALU_DEP_1) | instid1(SALU_CYCLE_1)
	v_lshl_or_b32 v4, s4, 12, v1
	s_delay_alu instid0(VALU_DEP_1) | instskip(SKIP_1) | instid1(VALU_DEP_1)
	v_lshlrev_b64_e32 v[2:3], 2, v[4:5]
	s_wait_kmcnt 0x0
	v_add_nc_u64_e32 v[6:7], s[0:1], v[2:3]
	global_load_b64 v[6:7], v[6:7], off offset:504
	s_wait_loadcnt 0x0
	s_clause 0x1
	global_store_b32 v4, v6, s[2:3] offset:508 scale_offset
	global_load_b32 v1, v4, s[0:1] offset:500 scale_offset
	s_wait_loadcnt 0x0
	s_clause 0x1
	global_store_b32 v4, v1, s[2:3] offset:504 scale_offset
	global_load_b32 v1, v4, s[0:1] offset:496 scale_offset
	;; [unrolled: 4-line block ×125, first 2 shown]
	s_wait_loadcnt 0x0
	s_clause 0x1
	global_store_b32 v4, v1, s[2:3] offset:8 scale_offset
	global_load_b32 v5, v4, s[0:1] scale_offset
	s_wait_xcnt 0x1
	v_lshlrev_b32_e32 v1, 2, v0
	s_wait_xcnt 0x0
	s_mov_b32 s0, exec_lo
	ds_store_b32 v1, v7
	s_wait_loadcnt 0x0
	global_store_b32 v4, v5, s[2:3] offset:4 scale_offset
	; wave barrier
	s_wait_storecnt_dscnt 0x0
	s_wait_xcnt 0x0
	v_cmpx_ne_u32_e32 0, v0
	s_cbranch_execz .LBB36_2
; %bb.1:
	v_add_nc_u32_e32 v0, -4, v1
	ds_load_b32 v4, v0
	v_add_nc_u64_e32 v[0:1], s[2:3], v[2:3]
	s_wait_dscnt 0x0
	global_store_b32 v[0:1], v4, off
.LBB36_2:
	s_endpgm
	.section	.rodata,"a",@progbits
	.p2align	6, 0x0
	.amdhsa_kernel _Z17shuffle_up_kernelILj32ELj128EfEvPT1_S1_
		.amdhsa_group_segment_fixed_size 128
		.amdhsa_private_segment_fixed_size 0
		.amdhsa_kernarg_size 16
		.amdhsa_user_sgpr_count 2
		.amdhsa_user_sgpr_dispatch_ptr 0
		.amdhsa_user_sgpr_queue_ptr 0
		.amdhsa_user_sgpr_kernarg_segment_ptr 1
		.amdhsa_user_sgpr_dispatch_id 0
		.amdhsa_user_sgpr_kernarg_preload_length 0
		.amdhsa_user_sgpr_kernarg_preload_offset 0
		.amdhsa_user_sgpr_private_segment_size 0
		.amdhsa_wavefront_size32 1
		.amdhsa_uses_dynamic_stack 0
		.amdhsa_enable_private_segment 0
		.amdhsa_system_sgpr_workgroup_id_x 1
		.amdhsa_system_sgpr_workgroup_id_y 0
		.amdhsa_system_sgpr_workgroup_id_z 0
		.amdhsa_system_sgpr_workgroup_info 0
		.amdhsa_system_vgpr_workitem_id 0
		.amdhsa_next_free_vgpr 8
		.amdhsa_next_free_sgpr 7
		.amdhsa_named_barrier_count 0
		.amdhsa_reserve_vcc 0
		.amdhsa_float_round_mode_32 0
		.amdhsa_float_round_mode_16_64 0
		.amdhsa_float_denorm_mode_32 3
		.amdhsa_float_denorm_mode_16_64 3
		.amdhsa_fp16_overflow 0
		.amdhsa_memory_ordered 1
		.amdhsa_forward_progress 1
		.amdhsa_inst_pref_size 33
		.amdhsa_round_robin_scheduling 0
		.amdhsa_exception_fp_ieee_invalid_op 0
		.amdhsa_exception_fp_denorm_src 0
		.amdhsa_exception_fp_ieee_div_zero 0
		.amdhsa_exception_fp_ieee_overflow 0
		.amdhsa_exception_fp_ieee_underflow 0
		.amdhsa_exception_fp_ieee_inexact 0
		.amdhsa_exception_int_div_zero 0
	.end_amdhsa_kernel
	.section	.text._Z17shuffle_up_kernelILj32ELj128EfEvPT1_S1_,"axG",@progbits,_Z17shuffle_up_kernelILj32ELj128EfEvPT1_S1_,comdat
.Lfunc_end36:
	.size	_Z17shuffle_up_kernelILj32ELj128EfEvPT1_S1_, .Lfunc_end36-_Z17shuffle_up_kernelILj32ELj128EfEvPT1_S1_
                                        ; -- End function
	.set _Z17shuffle_up_kernelILj32ELj128EfEvPT1_S1_.num_vgpr, 8
	.set _Z17shuffle_up_kernelILj32ELj128EfEvPT1_S1_.num_agpr, 0
	.set _Z17shuffle_up_kernelILj32ELj128EfEvPT1_S1_.numbered_sgpr, 7
	.set _Z17shuffle_up_kernelILj32ELj128EfEvPT1_S1_.num_named_barrier, 0
	.set _Z17shuffle_up_kernelILj32ELj128EfEvPT1_S1_.private_seg_size, 0
	.set _Z17shuffle_up_kernelILj32ELj128EfEvPT1_S1_.uses_vcc, 0
	.set _Z17shuffle_up_kernelILj32ELj128EfEvPT1_S1_.uses_flat_scratch, 0
	.set _Z17shuffle_up_kernelILj32ELj128EfEvPT1_S1_.has_dyn_sized_stack, 0
	.set _Z17shuffle_up_kernelILj32ELj128EfEvPT1_S1_.has_recursion, 0
	.set _Z17shuffle_up_kernelILj32ELj128EfEvPT1_S1_.has_indirect_call, 0
	.section	.AMDGPU.csdata,"",@progbits
; Kernel info:
; codeLenInByte = 4220
; TotalNumSgprs: 7
; NumVgprs: 8
; ScratchSize: 0
; MemoryBound: 1
; FloatMode: 240
; IeeeMode: 1
; LDSByteSize: 128 bytes/workgroup (compile time only)
; SGPRBlocks: 0
; VGPRBlocks: 0
; NumSGPRsForWavesPerEU: 7
; NumVGPRsForWavesPerEU: 8
; NamedBarCnt: 0
; Occupancy: 16
; WaveLimiterHint : 1
; COMPUTE_PGM_RSRC2:SCRATCH_EN: 0
; COMPUTE_PGM_RSRC2:USER_SGPR: 2
; COMPUTE_PGM_RSRC2:TRAP_HANDLER: 0
; COMPUTE_PGM_RSRC2:TGID_X_EN: 1
; COMPUTE_PGM_RSRC2:TGID_Y_EN: 0
; COMPUTE_PGM_RSRC2:TGID_Z_EN: 0
; COMPUTE_PGM_RSRC2:TIDIG_COMP_CNT: 0
	.section	.text._Z17shuffle_up_kernelILj377ELj128ElEvPT1_S1_,"axG",@progbits,_Z17shuffle_up_kernelILj377ELj128ElEvPT1_S1_,comdat
	.protected	_Z17shuffle_up_kernelILj377ELj128ElEvPT1_S1_ ; -- Begin function _Z17shuffle_up_kernelILj377ELj128ElEvPT1_S1_
	.globl	_Z17shuffle_up_kernelILj377ELj128ElEvPT1_S1_
	.p2align	8
	.type	_Z17shuffle_up_kernelILj377ELj128ElEvPT1_S1_,@function
_Z17shuffle_up_kernelILj377ELj128ElEvPT1_S1_: ; @_Z17shuffle_up_kernelILj377ELj128ElEvPT1_S1_
; %bb.0:
	s_bfe_u32 s4, ttmp6, 0x4000c
	s_and_b32 s5, ttmp6, 15
	s_add_co_i32 s4, s4, 1
	s_load_b128 s[0:3], s[0:1], 0x0
	s_mul_i32 s4, ttmp9, s4
	s_getreg_b32 s6, hwreg(HW_REG_IB_STS2, 6, 4)
	s_add_co_i32 s5, s5, s4
	s_cmp_eq_u32 s6, 0
	v_dual_mov_b32 v9, 0 :: v_dual_lshlrev_b32 v1, 3, v0
	s_cselect_b32 s4, ttmp9, s5
	s_delay_alu instid0(SALU_CYCLE_1) | instskip(NEXT) | instid1(SALU_CYCLE_1)
	s_mulk_i32 s4, 0x179
	v_add_lshl_u32 v8, s4, v0, 7
	s_delay_alu instid0(VALU_DEP_1) | instskip(SKIP_1) | instid1(VALU_DEP_1)
	v_lshlrev_b64_e32 v[2:3], 3, v[8:9]
	s_wait_kmcnt 0x0
	v_add_nc_u64_e32 v[4:5], s[0:1], v[2:3]
	global_load_b128 v[4:7], v[4:5], off offset:1008
	s_wait_loadcnt 0x0
	s_clause 0x1
	global_store_b64 v8, v[4:5], s[2:3] offset:1016 scale_offset
	global_load_b64 v[4:5], v8, s[0:1] offset:1000 scale_offset
	ds_store_b64 v1, v[6:7]
	s_wait_loadcnt 0x0
	s_clause 0x1
	global_store_b64 v8, v[4:5], s[2:3] offset:1008 scale_offset
	global_load_b64 v[4:5], v8, s[0:1] offset:992 scale_offset
	s_wait_loadcnt 0x0
	s_clause 0x1
	global_store_b64 v8, v[4:5], s[2:3] offset:1000 scale_offset
	global_load_b64 v[4:5], v8, s[0:1] offset:984 scale_offset
	;; [unrolled: 4-line block ×124, first 2 shown]
	s_wait_loadcnt 0x0
	s_clause 0x1
	global_store_b64 v8, v[4:5], s[2:3] offset:16 scale_offset
	global_load_b64 v[4:5], v8, s[0:1] scale_offset
	s_wait_xcnt 0x0
	s_mov_b32 s0, exec_lo
	s_wait_loadcnt 0x0
	global_store_b64 v8, v[4:5], s[2:3] offset:8 scale_offset
	s_wait_storecnt_dscnt 0x0
	s_barrier_signal -1
	s_barrier_wait -1
	s_wait_xcnt 0x0
	v_cmpx_ne_u32_e32 0, v0
	s_cbranch_execz .LBB37_2
; %bb.1:
	v_add_nc_u32_e32 v0, -8, v1
	v_add_nc_u64_e32 v[2:3], s[2:3], v[2:3]
	ds_load_b64 v[0:1], v0
	s_wait_dscnt 0x0
	global_store_b64 v[2:3], v[0:1], off
.LBB37_2:
	s_endpgm
	.section	.rodata,"a",@progbits
	.p2align	6, 0x0
	.amdhsa_kernel _Z17shuffle_up_kernelILj377ELj128ElEvPT1_S1_
		.amdhsa_group_segment_fixed_size 3016
		.amdhsa_private_segment_fixed_size 0
		.amdhsa_kernarg_size 16
		.amdhsa_user_sgpr_count 2
		.amdhsa_user_sgpr_dispatch_ptr 0
		.amdhsa_user_sgpr_queue_ptr 0
		.amdhsa_user_sgpr_kernarg_segment_ptr 1
		.amdhsa_user_sgpr_dispatch_id 0
		.amdhsa_user_sgpr_kernarg_preload_length 0
		.amdhsa_user_sgpr_kernarg_preload_offset 0
		.amdhsa_user_sgpr_private_segment_size 0
		.amdhsa_wavefront_size32 1
		.amdhsa_uses_dynamic_stack 0
		.amdhsa_enable_private_segment 0
		.amdhsa_system_sgpr_workgroup_id_x 1
		.amdhsa_system_sgpr_workgroup_id_y 0
		.amdhsa_system_sgpr_workgroup_id_z 0
		.amdhsa_system_sgpr_workgroup_info 0
		.amdhsa_system_vgpr_workitem_id 0
		.amdhsa_next_free_vgpr 10
		.amdhsa_next_free_sgpr 7
		.amdhsa_named_barrier_count 0
		.amdhsa_reserve_vcc 0
		.amdhsa_float_round_mode_32 0
		.amdhsa_float_round_mode_16_64 0
		.amdhsa_float_denorm_mode_32 3
		.amdhsa_float_denorm_mode_16_64 3
		.amdhsa_fp16_overflow 0
		.amdhsa_memory_ordered 1
		.amdhsa_forward_progress 1
		.amdhsa_inst_pref_size 33
		.amdhsa_round_robin_scheduling 0
		.amdhsa_exception_fp_ieee_invalid_op 0
		.amdhsa_exception_fp_denorm_src 0
		.amdhsa_exception_fp_ieee_div_zero 0
		.amdhsa_exception_fp_ieee_overflow 0
		.amdhsa_exception_fp_ieee_underflow 0
		.amdhsa_exception_fp_ieee_inexact 0
		.amdhsa_exception_int_div_zero 0
	.end_amdhsa_kernel
	.section	.text._Z17shuffle_up_kernelILj377ELj128ElEvPT1_S1_,"axG",@progbits,_Z17shuffle_up_kernelILj377ELj128ElEvPT1_S1_,comdat
.Lfunc_end37:
	.size	_Z17shuffle_up_kernelILj377ELj128ElEvPT1_S1_, .Lfunc_end37-_Z17shuffle_up_kernelILj377ELj128ElEvPT1_S1_
                                        ; -- End function
	.set _Z17shuffle_up_kernelILj377ELj128ElEvPT1_S1_.num_vgpr, 10
	.set _Z17shuffle_up_kernelILj377ELj128ElEvPT1_S1_.num_agpr, 0
	.set _Z17shuffle_up_kernelILj377ELj128ElEvPT1_S1_.numbered_sgpr, 7
	.set _Z17shuffle_up_kernelILj377ELj128ElEvPT1_S1_.num_named_barrier, 0
	.set _Z17shuffle_up_kernelILj377ELj128ElEvPT1_S1_.private_seg_size, 0
	.set _Z17shuffle_up_kernelILj377ELj128ElEvPT1_S1_.uses_vcc, 0
	.set _Z17shuffle_up_kernelILj377ELj128ElEvPT1_S1_.uses_flat_scratch, 0
	.set _Z17shuffle_up_kernelILj377ELj128ElEvPT1_S1_.has_dyn_sized_stack, 0
	.set _Z17shuffle_up_kernelILj377ELj128ElEvPT1_S1_.has_recursion, 0
	.set _Z17shuffle_up_kernelILj377ELj128ElEvPT1_S1_.has_indirect_call, 0
	.section	.AMDGPU.csdata,"",@progbits
; Kernel info:
; codeLenInByte = 4224
; TotalNumSgprs: 7
; NumVgprs: 10
; ScratchSize: 0
; MemoryBound: 1
; FloatMode: 240
; IeeeMode: 1
; LDSByteSize: 3016 bytes/workgroup (compile time only)
; SGPRBlocks: 0
; VGPRBlocks: 0
; NumSGPRsForWavesPerEU: 7
; NumVGPRsForWavesPerEU: 10
; NamedBarCnt: 0
; Occupancy: 16
; WaveLimiterHint : 1
; COMPUTE_PGM_RSRC2:SCRATCH_EN: 0
; COMPUTE_PGM_RSRC2:USER_SGPR: 2
; COMPUTE_PGM_RSRC2:TRAP_HANDLER: 0
; COMPUTE_PGM_RSRC2:TGID_X_EN: 1
; COMPUTE_PGM_RSRC2:TGID_Y_EN: 0
; COMPUTE_PGM_RSRC2:TGID_Z_EN: 0
; COMPUTE_PGM_RSRC2:TIDIG_COMP_CNT: 0
	.section	.text._Z17shuffle_up_kernelILj256ELj128ElEvPT1_S1_,"axG",@progbits,_Z17shuffle_up_kernelILj256ELj128ElEvPT1_S1_,comdat
	.protected	_Z17shuffle_up_kernelILj256ELj128ElEvPT1_S1_ ; -- Begin function _Z17shuffle_up_kernelILj256ELj128ElEvPT1_S1_
	.globl	_Z17shuffle_up_kernelILj256ELj128ElEvPT1_S1_
	.p2align	8
	.type	_Z17shuffle_up_kernelILj256ELj128ElEvPT1_S1_,@function
_Z17shuffle_up_kernelILj256ELj128ElEvPT1_S1_: ; @_Z17shuffle_up_kernelILj256ELj128ElEvPT1_S1_
; %bb.0:
	s_bfe_u32 s4, ttmp6, 0x4000c
	s_load_b128 s[0:3], s[0:1], 0x0
	s_add_co_i32 s4, s4, 1
	s_and_b32 s5, ttmp6, 15
	s_mul_i32 s4, ttmp9, s4
	s_getreg_b32 s6, hwreg(HW_REG_IB_STS2, 6, 4)
	v_dual_lshlrev_b32 v1, 7, v0 :: v_dual_mov_b32 v9, 0
	s_add_co_i32 s5, s5, s4
	s_cmp_eq_u32 s6, 0
	s_cselect_b32 s4, ttmp9, s5
	s_delay_alu instid0(VALU_DEP_1) | instid1(SALU_CYCLE_1)
	v_lshl_or_b32 v8, s4, 15, v1
	v_lshlrev_b32_e32 v1, 3, v0
	s_delay_alu instid0(VALU_DEP_2) | instskip(SKIP_1) | instid1(VALU_DEP_1)
	v_lshlrev_b64_e32 v[2:3], 3, v[8:9]
	s_wait_kmcnt 0x0
	v_add_nc_u64_e32 v[4:5], s[0:1], v[2:3]
	global_load_b128 v[4:7], v[4:5], off offset:1008
	s_wait_loadcnt 0x0
	s_clause 0x1
	global_store_b64 v8, v[4:5], s[2:3] offset:1016 scale_offset
	global_load_b64 v[4:5], v8, s[0:1] offset:1000 scale_offset
	ds_store_b64 v1, v[6:7]
	s_wait_loadcnt 0x0
	s_clause 0x1
	global_store_b64 v8, v[4:5], s[2:3] offset:1008 scale_offset
	global_load_b64 v[4:5], v8, s[0:1] offset:992 scale_offset
	s_wait_loadcnt 0x0
	s_clause 0x1
	global_store_b64 v8, v[4:5], s[2:3] offset:1000 scale_offset
	global_load_b64 v[4:5], v8, s[0:1] offset:984 scale_offset
	;; [unrolled: 4-line block ×124, first 2 shown]
	s_wait_loadcnt 0x0
	s_clause 0x1
	global_store_b64 v8, v[4:5], s[2:3] offset:16 scale_offset
	global_load_b64 v[4:5], v8, s[0:1] scale_offset
	s_wait_xcnt 0x0
	s_mov_b32 s0, exec_lo
	s_wait_loadcnt 0x0
	global_store_b64 v8, v[4:5], s[2:3] offset:8 scale_offset
	s_wait_storecnt_dscnt 0x0
	s_barrier_signal -1
	s_barrier_wait -1
	s_wait_xcnt 0x0
	v_cmpx_ne_u32_e32 0, v0
	s_cbranch_execz .LBB38_2
; %bb.1:
	v_add_nc_u32_e32 v0, -8, v1
	v_add_nc_u64_e32 v[2:3], s[2:3], v[2:3]
	ds_load_b64 v[0:1], v0
	s_wait_dscnt 0x0
	global_store_b64 v[2:3], v[0:1], off
.LBB38_2:
	s_endpgm
	.section	.rodata,"a",@progbits
	.p2align	6, 0x0
	.amdhsa_kernel _Z17shuffle_up_kernelILj256ELj128ElEvPT1_S1_
		.amdhsa_group_segment_fixed_size 2048
		.amdhsa_private_segment_fixed_size 0
		.amdhsa_kernarg_size 16
		.amdhsa_user_sgpr_count 2
		.amdhsa_user_sgpr_dispatch_ptr 0
		.amdhsa_user_sgpr_queue_ptr 0
		.amdhsa_user_sgpr_kernarg_segment_ptr 1
		.amdhsa_user_sgpr_dispatch_id 0
		.amdhsa_user_sgpr_kernarg_preload_length 0
		.amdhsa_user_sgpr_kernarg_preload_offset 0
		.amdhsa_user_sgpr_private_segment_size 0
		.amdhsa_wavefront_size32 1
		.amdhsa_uses_dynamic_stack 0
		.amdhsa_enable_private_segment 0
		.amdhsa_system_sgpr_workgroup_id_x 1
		.amdhsa_system_sgpr_workgroup_id_y 0
		.amdhsa_system_sgpr_workgroup_id_z 0
		.amdhsa_system_sgpr_workgroup_info 0
		.amdhsa_system_vgpr_workitem_id 0
		.amdhsa_next_free_vgpr 10
		.amdhsa_next_free_sgpr 7
		.amdhsa_named_barrier_count 0
		.amdhsa_reserve_vcc 0
		.amdhsa_float_round_mode_32 0
		.amdhsa_float_round_mode_16_64 0
		.amdhsa_float_denorm_mode_32 3
		.amdhsa_float_denorm_mode_16_64 3
		.amdhsa_fp16_overflow 0
		.amdhsa_memory_ordered 1
		.amdhsa_forward_progress 1
		.amdhsa_inst_pref_size 33
		.amdhsa_round_robin_scheduling 0
		.amdhsa_exception_fp_ieee_invalid_op 0
		.amdhsa_exception_fp_denorm_src 0
		.amdhsa_exception_fp_ieee_div_zero 0
		.amdhsa_exception_fp_ieee_overflow 0
		.amdhsa_exception_fp_ieee_underflow 0
		.amdhsa_exception_fp_ieee_inexact 0
		.amdhsa_exception_int_div_zero 0
	.end_amdhsa_kernel
	.section	.text._Z17shuffle_up_kernelILj256ELj128ElEvPT1_S1_,"axG",@progbits,_Z17shuffle_up_kernelILj256ELj128ElEvPT1_S1_,comdat
.Lfunc_end38:
	.size	_Z17shuffle_up_kernelILj256ELj128ElEvPT1_S1_, .Lfunc_end38-_Z17shuffle_up_kernelILj256ELj128ElEvPT1_S1_
                                        ; -- End function
	.set _Z17shuffle_up_kernelILj256ELj128ElEvPT1_S1_.num_vgpr, 10
	.set _Z17shuffle_up_kernelILj256ELj128ElEvPT1_S1_.num_agpr, 0
	.set _Z17shuffle_up_kernelILj256ELj128ElEvPT1_S1_.numbered_sgpr, 7
	.set _Z17shuffle_up_kernelILj256ELj128ElEvPT1_S1_.num_named_barrier, 0
	.set _Z17shuffle_up_kernelILj256ELj128ElEvPT1_S1_.private_seg_size, 0
	.set _Z17shuffle_up_kernelILj256ELj128ElEvPT1_S1_.uses_vcc, 0
	.set _Z17shuffle_up_kernelILj256ELj128ElEvPT1_S1_.uses_flat_scratch, 0
	.set _Z17shuffle_up_kernelILj256ELj128ElEvPT1_S1_.has_dyn_sized_stack, 0
	.set _Z17shuffle_up_kernelILj256ELj128ElEvPT1_S1_.has_recursion, 0
	.set _Z17shuffle_up_kernelILj256ELj128ElEvPT1_S1_.has_indirect_call, 0
	.section	.AMDGPU.csdata,"",@progbits
; Kernel info:
; codeLenInByte = 4224
; TotalNumSgprs: 7
; NumVgprs: 10
; ScratchSize: 0
; MemoryBound: 1
; FloatMode: 240
; IeeeMode: 1
; LDSByteSize: 2048 bytes/workgroup (compile time only)
; SGPRBlocks: 0
; VGPRBlocks: 0
; NumSGPRsForWavesPerEU: 7
; NumVGPRsForWavesPerEU: 10
; NamedBarCnt: 0
; Occupancy: 16
; WaveLimiterHint : 1
; COMPUTE_PGM_RSRC2:SCRATCH_EN: 0
; COMPUTE_PGM_RSRC2:USER_SGPR: 2
; COMPUTE_PGM_RSRC2:TRAP_HANDLER: 0
; COMPUTE_PGM_RSRC2:TGID_X_EN: 1
; COMPUTE_PGM_RSRC2:TGID_Y_EN: 0
; COMPUTE_PGM_RSRC2:TGID_Z_EN: 0
; COMPUTE_PGM_RSRC2:TIDIG_COMP_CNT: 0
	.section	.text._Z17shuffle_up_kernelILj64ELj128ElEvPT1_S1_,"axG",@progbits,_Z17shuffle_up_kernelILj64ELj128ElEvPT1_S1_,comdat
	.protected	_Z17shuffle_up_kernelILj64ELj128ElEvPT1_S1_ ; -- Begin function _Z17shuffle_up_kernelILj64ELj128ElEvPT1_S1_
	.globl	_Z17shuffle_up_kernelILj64ELj128ElEvPT1_S1_
	.p2align	8
	.type	_Z17shuffle_up_kernelILj64ELj128ElEvPT1_S1_,@function
_Z17shuffle_up_kernelILj64ELj128ElEvPT1_S1_: ; @_Z17shuffle_up_kernelILj64ELj128ElEvPT1_S1_
; %bb.0:
	s_bfe_u32 s4, ttmp6, 0x4000c
	s_load_b128 s[0:3], s[0:1], 0x0
	s_add_co_i32 s4, s4, 1
	s_and_b32 s5, ttmp6, 15
	s_mul_i32 s4, ttmp9, s4
	s_getreg_b32 s6, hwreg(HW_REG_IB_STS2, 6, 4)
	v_dual_lshlrev_b32 v1, 7, v0 :: v_dual_mov_b32 v9, 0
	s_add_co_i32 s5, s5, s4
	s_cmp_eq_u32 s6, 0
	s_cselect_b32 s4, ttmp9, s5
	s_delay_alu instid0(VALU_DEP_1) | instid1(SALU_CYCLE_1)
	v_lshl_or_b32 v8, s4, 13, v1
	v_lshlrev_b32_e32 v1, 3, v0
	s_delay_alu instid0(VALU_DEP_2) | instskip(SKIP_1) | instid1(VALU_DEP_1)
	v_lshlrev_b64_e32 v[2:3], 3, v[8:9]
	s_wait_kmcnt 0x0
	v_add_nc_u64_e32 v[4:5], s[0:1], v[2:3]
	global_load_b128 v[4:7], v[4:5], off offset:1008
	s_wait_loadcnt 0x0
	s_clause 0x1
	global_store_b64 v8, v[4:5], s[2:3] offset:1016 scale_offset
	global_load_b64 v[4:5], v8, s[0:1] offset:1000 scale_offset
	ds_store_b64 v1, v[6:7]
	s_wait_loadcnt 0x0
	s_clause 0x1
	global_store_b64 v8, v[4:5], s[2:3] offset:1008 scale_offset
	global_load_b64 v[4:5], v8, s[0:1] offset:992 scale_offset
	s_wait_loadcnt 0x0
	s_clause 0x1
	global_store_b64 v8, v[4:5], s[2:3] offset:1000 scale_offset
	global_load_b64 v[4:5], v8, s[0:1] offset:984 scale_offset
	;; [unrolled: 4-line block ×124, first 2 shown]
	s_wait_loadcnt 0x0
	s_clause 0x1
	global_store_b64 v8, v[4:5], s[2:3] offset:16 scale_offset
	global_load_b64 v[4:5], v8, s[0:1] scale_offset
	s_wait_xcnt 0x0
	s_mov_b32 s0, exec_lo
	s_wait_loadcnt 0x0
	global_store_b64 v8, v[4:5], s[2:3] offset:8 scale_offset
	s_wait_storecnt_dscnt 0x0
	s_barrier_signal -1
	s_barrier_wait -1
	s_wait_xcnt 0x0
	v_cmpx_ne_u32_e32 0, v0
	s_cbranch_execz .LBB39_2
; %bb.1:
	v_add_nc_u32_e32 v0, -8, v1
	v_add_nc_u64_e32 v[2:3], s[2:3], v[2:3]
	ds_load_b64 v[0:1], v0
	s_wait_dscnt 0x0
	global_store_b64 v[2:3], v[0:1], off
.LBB39_2:
	s_endpgm
	.section	.rodata,"a",@progbits
	.p2align	6, 0x0
	.amdhsa_kernel _Z17shuffle_up_kernelILj64ELj128ElEvPT1_S1_
		.amdhsa_group_segment_fixed_size 512
		.amdhsa_private_segment_fixed_size 0
		.amdhsa_kernarg_size 16
		.amdhsa_user_sgpr_count 2
		.amdhsa_user_sgpr_dispatch_ptr 0
		.amdhsa_user_sgpr_queue_ptr 0
		.amdhsa_user_sgpr_kernarg_segment_ptr 1
		.amdhsa_user_sgpr_dispatch_id 0
		.amdhsa_user_sgpr_kernarg_preload_length 0
		.amdhsa_user_sgpr_kernarg_preload_offset 0
		.amdhsa_user_sgpr_private_segment_size 0
		.amdhsa_wavefront_size32 1
		.amdhsa_uses_dynamic_stack 0
		.amdhsa_enable_private_segment 0
		.amdhsa_system_sgpr_workgroup_id_x 1
		.amdhsa_system_sgpr_workgroup_id_y 0
		.amdhsa_system_sgpr_workgroup_id_z 0
		.amdhsa_system_sgpr_workgroup_info 0
		.amdhsa_system_vgpr_workitem_id 0
		.amdhsa_next_free_vgpr 10
		.amdhsa_next_free_sgpr 7
		.amdhsa_named_barrier_count 0
		.amdhsa_reserve_vcc 0
		.amdhsa_float_round_mode_32 0
		.amdhsa_float_round_mode_16_64 0
		.amdhsa_float_denorm_mode_32 3
		.amdhsa_float_denorm_mode_16_64 3
		.amdhsa_fp16_overflow 0
		.amdhsa_memory_ordered 1
		.amdhsa_forward_progress 1
		.amdhsa_inst_pref_size 33
		.amdhsa_round_robin_scheduling 0
		.amdhsa_exception_fp_ieee_invalid_op 0
		.amdhsa_exception_fp_denorm_src 0
		.amdhsa_exception_fp_ieee_div_zero 0
		.amdhsa_exception_fp_ieee_overflow 0
		.amdhsa_exception_fp_ieee_underflow 0
		.amdhsa_exception_fp_ieee_inexact 0
		.amdhsa_exception_int_div_zero 0
	.end_amdhsa_kernel
	.section	.text._Z17shuffle_up_kernelILj64ELj128ElEvPT1_S1_,"axG",@progbits,_Z17shuffle_up_kernelILj64ELj128ElEvPT1_S1_,comdat
.Lfunc_end39:
	.size	_Z17shuffle_up_kernelILj64ELj128ElEvPT1_S1_, .Lfunc_end39-_Z17shuffle_up_kernelILj64ELj128ElEvPT1_S1_
                                        ; -- End function
	.set _Z17shuffle_up_kernelILj64ELj128ElEvPT1_S1_.num_vgpr, 10
	.set _Z17shuffle_up_kernelILj64ELj128ElEvPT1_S1_.num_agpr, 0
	.set _Z17shuffle_up_kernelILj64ELj128ElEvPT1_S1_.numbered_sgpr, 7
	.set _Z17shuffle_up_kernelILj64ELj128ElEvPT1_S1_.num_named_barrier, 0
	.set _Z17shuffle_up_kernelILj64ELj128ElEvPT1_S1_.private_seg_size, 0
	.set _Z17shuffle_up_kernelILj64ELj128ElEvPT1_S1_.uses_vcc, 0
	.set _Z17shuffle_up_kernelILj64ELj128ElEvPT1_S1_.uses_flat_scratch, 0
	.set _Z17shuffle_up_kernelILj64ELj128ElEvPT1_S1_.has_dyn_sized_stack, 0
	.set _Z17shuffle_up_kernelILj64ELj128ElEvPT1_S1_.has_recursion, 0
	.set _Z17shuffle_up_kernelILj64ELj128ElEvPT1_S1_.has_indirect_call, 0
	.section	.AMDGPU.csdata,"",@progbits
; Kernel info:
; codeLenInByte = 4224
; TotalNumSgprs: 7
; NumVgprs: 10
; ScratchSize: 0
; MemoryBound: 1
; FloatMode: 240
; IeeeMode: 1
; LDSByteSize: 512 bytes/workgroup (compile time only)
; SGPRBlocks: 0
; VGPRBlocks: 0
; NumSGPRsForWavesPerEU: 7
; NumVGPRsForWavesPerEU: 10
; NamedBarCnt: 0
; Occupancy: 16
; WaveLimiterHint : 1
; COMPUTE_PGM_RSRC2:SCRATCH_EN: 0
; COMPUTE_PGM_RSRC2:USER_SGPR: 2
; COMPUTE_PGM_RSRC2:TRAP_HANDLER: 0
; COMPUTE_PGM_RSRC2:TGID_X_EN: 1
; COMPUTE_PGM_RSRC2:TGID_Y_EN: 0
; COMPUTE_PGM_RSRC2:TGID_Z_EN: 0
; COMPUTE_PGM_RSRC2:TIDIG_COMP_CNT: 0
	.section	.text._Z17shuffle_up_kernelILj377ELj128EjEvPT1_S1_,"axG",@progbits,_Z17shuffle_up_kernelILj377ELj128EjEvPT1_S1_,comdat
	.protected	_Z17shuffle_up_kernelILj377ELj128EjEvPT1_S1_ ; -- Begin function _Z17shuffle_up_kernelILj377ELj128EjEvPT1_S1_
	.globl	_Z17shuffle_up_kernelILj377ELj128EjEvPT1_S1_
	.p2align	8
	.type	_Z17shuffle_up_kernelILj377ELj128EjEvPT1_S1_,@function
_Z17shuffle_up_kernelILj377ELj128EjEvPT1_S1_: ; @_Z17shuffle_up_kernelILj377ELj128EjEvPT1_S1_
; %bb.0:
	s_bfe_u32 s4, ttmp6, 0x4000c
	s_and_b32 s5, ttmp6, 15
	s_add_co_i32 s4, s4, 1
	s_load_b128 s[0:3], s[0:1], 0x0
	s_mul_i32 s4, ttmp9, s4
	s_getreg_b32 s6, hwreg(HW_REG_IB_STS2, 6, 4)
	s_add_co_i32 s5, s5, s4
	s_cmp_eq_u32 s6, 0
	v_mov_b32_e32 v5, 0
	s_cselect_b32 s4, ttmp9, s5
	s_delay_alu instid0(SALU_CYCLE_1) | instskip(NEXT) | instid1(SALU_CYCLE_1)
	s_mulk_i32 s4, 0x179
	v_add_lshl_u32 v4, s4, v0, 7
	s_delay_alu instid0(VALU_DEP_1) | instskip(SKIP_1) | instid1(VALU_DEP_1)
	v_lshlrev_b64_e32 v[2:3], 2, v[4:5]
	s_wait_kmcnt 0x0
	v_add_nc_u64_e32 v[6:7], s[0:1], v[2:3]
	global_load_b64 v[6:7], v[6:7], off offset:504
	s_wait_loadcnt 0x0
	s_clause 0x1
	global_store_b32 v4, v6, s[2:3] offset:508 scale_offset
	global_load_b32 v1, v4, s[0:1] offset:500 scale_offset
	s_wait_loadcnt 0x0
	s_clause 0x1
	global_store_b32 v4, v1, s[2:3] offset:504 scale_offset
	global_load_b32 v1, v4, s[0:1] offset:496 scale_offset
	;; [unrolled: 4-line block ×125, first 2 shown]
	s_wait_loadcnt 0x0
	s_clause 0x1
	global_store_b32 v4, v1, s[2:3] offset:8 scale_offset
	global_load_b32 v5, v4, s[0:1] scale_offset
	s_wait_xcnt 0x1
	v_lshlrev_b32_e32 v1, 2, v0
	s_wait_xcnt 0x0
	s_mov_b32 s0, exec_lo
	ds_store_b32 v1, v7
	s_wait_loadcnt 0x0
	global_store_b32 v4, v5, s[2:3] offset:4 scale_offset
	s_wait_storecnt_dscnt 0x0
	s_barrier_signal -1
	s_barrier_wait -1
	s_wait_xcnt 0x0
	v_cmpx_ne_u32_e32 0, v0
	s_cbranch_execz .LBB40_2
; %bb.1:
	v_add_nc_u32_e32 v0, -4, v1
	ds_load_b32 v4, v0
	v_add_nc_u64_e32 v[0:1], s[2:3], v[2:3]
	s_wait_dscnt 0x0
	global_store_b32 v[0:1], v4, off
.LBB40_2:
	s_endpgm
	.section	.rodata,"a",@progbits
	.p2align	6, 0x0
	.amdhsa_kernel _Z17shuffle_up_kernelILj377ELj128EjEvPT1_S1_
		.amdhsa_group_segment_fixed_size 1508
		.amdhsa_private_segment_fixed_size 0
		.amdhsa_kernarg_size 16
		.amdhsa_user_sgpr_count 2
		.amdhsa_user_sgpr_dispatch_ptr 0
		.amdhsa_user_sgpr_queue_ptr 0
		.amdhsa_user_sgpr_kernarg_segment_ptr 1
		.amdhsa_user_sgpr_dispatch_id 0
		.amdhsa_user_sgpr_kernarg_preload_length 0
		.amdhsa_user_sgpr_kernarg_preload_offset 0
		.amdhsa_user_sgpr_private_segment_size 0
		.amdhsa_wavefront_size32 1
		.amdhsa_uses_dynamic_stack 0
		.amdhsa_enable_private_segment 0
		.amdhsa_system_sgpr_workgroup_id_x 1
		.amdhsa_system_sgpr_workgroup_id_y 0
		.amdhsa_system_sgpr_workgroup_id_z 0
		.amdhsa_system_sgpr_workgroup_info 0
		.amdhsa_system_vgpr_workitem_id 0
		.amdhsa_next_free_vgpr 8
		.amdhsa_next_free_sgpr 7
		.amdhsa_named_barrier_count 0
		.amdhsa_reserve_vcc 0
		.amdhsa_float_round_mode_32 0
		.amdhsa_float_round_mode_16_64 0
		.amdhsa_float_denorm_mode_32 3
		.amdhsa_float_denorm_mode_16_64 3
		.amdhsa_fp16_overflow 0
		.amdhsa_memory_ordered 1
		.amdhsa_forward_progress 1
		.amdhsa_inst_pref_size 33
		.amdhsa_round_robin_scheduling 0
		.amdhsa_exception_fp_ieee_invalid_op 0
		.amdhsa_exception_fp_denorm_src 0
		.amdhsa_exception_fp_ieee_div_zero 0
		.amdhsa_exception_fp_ieee_overflow 0
		.amdhsa_exception_fp_ieee_underflow 0
		.amdhsa_exception_fp_ieee_inexact 0
		.amdhsa_exception_int_div_zero 0
	.end_amdhsa_kernel
	.section	.text._Z17shuffle_up_kernelILj377ELj128EjEvPT1_S1_,"axG",@progbits,_Z17shuffle_up_kernelILj377ELj128EjEvPT1_S1_,comdat
.Lfunc_end40:
	.size	_Z17shuffle_up_kernelILj377ELj128EjEvPT1_S1_, .Lfunc_end40-_Z17shuffle_up_kernelILj377ELj128EjEvPT1_S1_
                                        ; -- End function
	.set _Z17shuffle_up_kernelILj377ELj128EjEvPT1_S1_.num_vgpr, 8
	.set _Z17shuffle_up_kernelILj377ELj128EjEvPT1_S1_.num_agpr, 0
	.set _Z17shuffle_up_kernelILj377ELj128EjEvPT1_S1_.numbered_sgpr, 7
	.set _Z17shuffle_up_kernelILj377ELj128EjEvPT1_S1_.num_named_barrier, 0
	.set _Z17shuffle_up_kernelILj377ELj128EjEvPT1_S1_.private_seg_size, 0
	.set _Z17shuffle_up_kernelILj377ELj128EjEvPT1_S1_.uses_vcc, 0
	.set _Z17shuffle_up_kernelILj377ELj128EjEvPT1_S1_.uses_flat_scratch, 0
	.set _Z17shuffle_up_kernelILj377ELj128EjEvPT1_S1_.has_dyn_sized_stack, 0
	.set _Z17shuffle_up_kernelILj377ELj128EjEvPT1_S1_.has_recursion, 0
	.set _Z17shuffle_up_kernelILj377ELj128EjEvPT1_S1_.has_indirect_call, 0
	.section	.AMDGPU.csdata,"",@progbits
; Kernel info:
; codeLenInByte = 4224
; TotalNumSgprs: 7
; NumVgprs: 8
; ScratchSize: 0
; MemoryBound: 1
; FloatMode: 240
; IeeeMode: 1
; LDSByteSize: 1508 bytes/workgroup (compile time only)
; SGPRBlocks: 0
; VGPRBlocks: 0
; NumSGPRsForWavesPerEU: 7
; NumVGPRsForWavesPerEU: 8
; NamedBarCnt: 0
; Occupancy: 16
; WaveLimiterHint : 1
; COMPUTE_PGM_RSRC2:SCRATCH_EN: 0
; COMPUTE_PGM_RSRC2:USER_SGPR: 2
; COMPUTE_PGM_RSRC2:TRAP_HANDLER: 0
; COMPUTE_PGM_RSRC2:TGID_X_EN: 1
; COMPUTE_PGM_RSRC2:TGID_Y_EN: 0
; COMPUTE_PGM_RSRC2:TGID_Z_EN: 0
; COMPUTE_PGM_RSRC2:TIDIG_COMP_CNT: 0
	.section	.text._Z17shuffle_up_kernelILj256ELj128EjEvPT1_S1_,"axG",@progbits,_Z17shuffle_up_kernelILj256ELj128EjEvPT1_S1_,comdat
	.protected	_Z17shuffle_up_kernelILj256ELj128EjEvPT1_S1_ ; -- Begin function _Z17shuffle_up_kernelILj256ELj128EjEvPT1_S1_
	.globl	_Z17shuffle_up_kernelILj256ELj128EjEvPT1_S1_
	.p2align	8
	.type	_Z17shuffle_up_kernelILj256ELj128EjEvPT1_S1_,@function
_Z17shuffle_up_kernelILj256ELj128EjEvPT1_S1_: ; @_Z17shuffle_up_kernelILj256ELj128EjEvPT1_S1_
; %bb.0:
	s_bfe_u32 s4, ttmp6, 0x4000c
	s_load_b128 s[0:3], s[0:1], 0x0
	s_add_co_i32 s4, s4, 1
	s_and_b32 s5, ttmp6, 15
	s_mul_i32 s4, ttmp9, s4
	s_getreg_b32 s6, hwreg(HW_REG_IB_STS2, 6, 4)
	v_dual_lshlrev_b32 v1, 7, v0 :: v_dual_mov_b32 v5, 0
	s_add_co_i32 s5, s5, s4
	s_cmp_eq_u32 s6, 0
	s_cselect_b32 s4, ttmp9, s5
	s_delay_alu instid0(VALU_DEP_1) | instid1(SALU_CYCLE_1)
	v_lshl_or_b32 v4, s4, 15, v1
	s_delay_alu instid0(VALU_DEP_1) | instskip(SKIP_1) | instid1(VALU_DEP_1)
	v_lshlrev_b64_e32 v[2:3], 2, v[4:5]
	s_wait_kmcnt 0x0
	v_add_nc_u64_e32 v[6:7], s[0:1], v[2:3]
	global_load_b64 v[6:7], v[6:7], off offset:504
	s_wait_loadcnt 0x0
	s_clause 0x1
	global_store_b32 v4, v6, s[2:3] offset:508 scale_offset
	global_load_b32 v1, v4, s[0:1] offset:500 scale_offset
	s_wait_loadcnt 0x0
	s_clause 0x1
	global_store_b32 v4, v1, s[2:3] offset:504 scale_offset
	global_load_b32 v1, v4, s[0:1] offset:496 scale_offset
	s_wait_loadcnt 0x0
	s_clause 0x1
	global_store_b32 v4, v1, s[2:3] offset:500 scale_offset
	global_load_b32 v1, v4, s[0:1] offset:492 scale_offset
	s_wait_loadcnt 0x0
	s_clause 0x1
	global_store_b32 v4, v1, s[2:3] offset:496 scale_offset
	global_load_b32 v1, v4, s[0:1] offset:488 scale_offset
	s_wait_loadcnt 0x0
	s_clause 0x1
	global_store_b32 v4, v1, s[2:3] offset:492 scale_offset
	global_load_b32 v1, v4, s[0:1] offset:484 scale_offset
	s_wait_loadcnt 0x0
	s_clause 0x1
	global_store_b32 v4, v1, s[2:3] offset:488 scale_offset
	global_load_b32 v1, v4, s[0:1] offset:480 scale_offset
	s_wait_loadcnt 0x0
	s_clause 0x1
	global_store_b32 v4, v1, s[2:3] offset:484 scale_offset
	global_load_b32 v1, v4, s[0:1] offset:476 scale_offset
	s_wait_loadcnt 0x0
	s_clause 0x1
	global_store_b32 v4, v1, s[2:3] offset:480 scale_offset
	global_load_b32 v1, v4, s[0:1] offset:472 scale_offset
	s_wait_loadcnt 0x0
	s_clause 0x1
	global_store_b32 v4, v1, s[2:3] offset:476 scale_offset
	global_load_b32 v1, v4, s[0:1] offset:468 scale_offset
	s_wait_loadcnt 0x0
	s_clause 0x1
	global_store_b32 v4, v1, s[2:3] offset:472 scale_offset
	global_load_b32 v1, v4, s[0:1] offset:464 scale_offset
	s_wait_loadcnt 0x0
	s_clause 0x1
	global_store_b32 v4, v1, s[2:3] offset:468 scale_offset
	global_load_b32 v1, v4, s[0:1] offset:460 scale_offset
	s_wait_loadcnt 0x0
	s_clause 0x1
	global_store_b32 v4, v1, s[2:3] offset:464 scale_offset
	global_load_b32 v1, v4, s[0:1] offset:456 scale_offset
	s_wait_loadcnt 0x0
	s_clause 0x1
	global_store_b32 v4, v1, s[2:3] offset:460 scale_offset
	global_load_b32 v1, v4, s[0:1] offset:452 scale_offset
	s_wait_loadcnt 0x0
	s_clause 0x1
	global_store_b32 v4, v1, s[2:3] offset:456 scale_offset
	global_load_b32 v1, v4, s[0:1] offset:448 scale_offset
	s_wait_loadcnt 0x0
	s_clause 0x1
	global_store_b32 v4, v1, s[2:3] offset:452 scale_offset
	global_load_b32 v1, v4, s[0:1] offset:444 scale_offset
	s_wait_loadcnt 0x0
	s_clause 0x1
	global_store_b32 v4, v1, s[2:3] offset:448 scale_offset
	global_load_b32 v1, v4, s[0:1] offset:440 scale_offset
	s_wait_loadcnt 0x0
	s_clause 0x1
	global_store_b32 v4, v1, s[2:3] offset:444 scale_offset
	global_load_b32 v1, v4, s[0:1] offset:436 scale_offset
	s_wait_loadcnt 0x0
	s_clause 0x1
	global_store_b32 v4, v1, s[2:3] offset:440 scale_offset
	global_load_b32 v1, v4, s[0:1] offset:432 scale_offset
	s_wait_loadcnt 0x0
	s_clause 0x1
	global_store_b32 v4, v1, s[2:3] offset:436 scale_offset
	global_load_b32 v1, v4, s[0:1] offset:428 scale_offset
	s_wait_loadcnt 0x0
	s_clause 0x1
	global_store_b32 v4, v1, s[2:3] offset:432 scale_offset
	global_load_b32 v1, v4, s[0:1] offset:424 scale_offset
	s_wait_loadcnt 0x0
	s_clause 0x1
	global_store_b32 v4, v1, s[2:3] offset:428 scale_offset
	global_load_b32 v1, v4, s[0:1] offset:420 scale_offset
	s_wait_loadcnt 0x0
	s_clause 0x1
	global_store_b32 v4, v1, s[2:3] offset:424 scale_offset
	global_load_b32 v1, v4, s[0:1] offset:416 scale_offset
	s_wait_loadcnt 0x0
	s_clause 0x1
	global_store_b32 v4, v1, s[2:3] offset:420 scale_offset
	global_load_b32 v1, v4, s[0:1] offset:412 scale_offset
	s_wait_loadcnt 0x0
	s_clause 0x1
	global_store_b32 v4, v1, s[2:3] offset:416 scale_offset
	global_load_b32 v1, v4, s[0:1] offset:408 scale_offset
	s_wait_loadcnt 0x0
	s_clause 0x1
	global_store_b32 v4, v1, s[2:3] offset:412 scale_offset
	global_load_b32 v1, v4, s[0:1] offset:404 scale_offset
	s_wait_loadcnt 0x0
	s_clause 0x1
	global_store_b32 v4, v1, s[2:3] offset:408 scale_offset
	global_load_b32 v1, v4, s[0:1] offset:400 scale_offset
	s_wait_loadcnt 0x0
	s_clause 0x1
	global_store_b32 v4, v1, s[2:3] offset:404 scale_offset
	global_load_b32 v1, v4, s[0:1] offset:396 scale_offset
	s_wait_loadcnt 0x0
	s_clause 0x1
	global_store_b32 v4, v1, s[2:3] offset:400 scale_offset
	global_load_b32 v1, v4, s[0:1] offset:392 scale_offset
	s_wait_loadcnt 0x0
	s_clause 0x1
	global_store_b32 v4, v1, s[2:3] offset:396 scale_offset
	global_load_b32 v1, v4, s[0:1] offset:388 scale_offset
	s_wait_loadcnt 0x0
	s_clause 0x1
	global_store_b32 v4, v1, s[2:3] offset:392 scale_offset
	global_load_b32 v1, v4, s[0:1] offset:384 scale_offset
	s_wait_loadcnt 0x0
	s_clause 0x1
	global_store_b32 v4, v1, s[2:3] offset:388 scale_offset
	global_load_b32 v1, v4, s[0:1] offset:380 scale_offset
	s_wait_loadcnt 0x0
	s_clause 0x1
	global_store_b32 v4, v1, s[2:3] offset:384 scale_offset
	global_load_b32 v1, v4, s[0:1] offset:376 scale_offset
	s_wait_loadcnt 0x0
	s_clause 0x1
	global_store_b32 v4, v1, s[2:3] offset:380 scale_offset
	global_load_b32 v1, v4, s[0:1] offset:372 scale_offset
	s_wait_loadcnt 0x0
	s_clause 0x1
	global_store_b32 v4, v1, s[2:3] offset:376 scale_offset
	global_load_b32 v1, v4, s[0:1] offset:368 scale_offset
	s_wait_loadcnt 0x0
	s_clause 0x1
	global_store_b32 v4, v1, s[2:3] offset:372 scale_offset
	global_load_b32 v1, v4, s[0:1] offset:364 scale_offset
	s_wait_loadcnt 0x0
	s_clause 0x1
	global_store_b32 v4, v1, s[2:3] offset:368 scale_offset
	global_load_b32 v1, v4, s[0:1] offset:360 scale_offset
	s_wait_loadcnt 0x0
	s_clause 0x1
	global_store_b32 v4, v1, s[2:3] offset:364 scale_offset
	global_load_b32 v1, v4, s[0:1] offset:356 scale_offset
	s_wait_loadcnt 0x0
	s_clause 0x1
	global_store_b32 v4, v1, s[2:3] offset:360 scale_offset
	global_load_b32 v1, v4, s[0:1] offset:352 scale_offset
	s_wait_loadcnt 0x0
	s_clause 0x1
	global_store_b32 v4, v1, s[2:3] offset:356 scale_offset
	global_load_b32 v1, v4, s[0:1] offset:348 scale_offset
	s_wait_loadcnt 0x0
	s_clause 0x1
	global_store_b32 v4, v1, s[2:3] offset:352 scale_offset
	global_load_b32 v1, v4, s[0:1] offset:344 scale_offset
	s_wait_loadcnt 0x0
	s_clause 0x1
	global_store_b32 v4, v1, s[2:3] offset:348 scale_offset
	global_load_b32 v1, v4, s[0:1] offset:340 scale_offset
	s_wait_loadcnt 0x0
	s_clause 0x1
	global_store_b32 v4, v1, s[2:3] offset:344 scale_offset
	global_load_b32 v1, v4, s[0:1] offset:336 scale_offset
	s_wait_loadcnt 0x0
	s_clause 0x1
	global_store_b32 v4, v1, s[2:3] offset:340 scale_offset
	global_load_b32 v1, v4, s[0:1] offset:332 scale_offset
	s_wait_loadcnt 0x0
	s_clause 0x1
	global_store_b32 v4, v1, s[2:3] offset:336 scale_offset
	global_load_b32 v1, v4, s[0:1] offset:328 scale_offset
	s_wait_loadcnt 0x0
	s_clause 0x1
	global_store_b32 v4, v1, s[2:3] offset:332 scale_offset
	global_load_b32 v1, v4, s[0:1] offset:324 scale_offset
	s_wait_loadcnt 0x0
	s_clause 0x1
	global_store_b32 v4, v1, s[2:3] offset:328 scale_offset
	global_load_b32 v1, v4, s[0:1] offset:320 scale_offset
	s_wait_loadcnt 0x0
	s_clause 0x1
	global_store_b32 v4, v1, s[2:3] offset:324 scale_offset
	global_load_b32 v1, v4, s[0:1] offset:316 scale_offset
	s_wait_loadcnt 0x0
	s_clause 0x1
	global_store_b32 v4, v1, s[2:3] offset:320 scale_offset
	global_load_b32 v1, v4, s[0:1] offset:312 scale_offset
	s_wait_loadcnt 0x0
	s_clause 0x1
	global_store_b32 v4, v1, s[2:3] offset:316 scale_offset
	global_load_b32 v1, v4, s[0:1] offset:308 scale_offset
	s_wait_loadcnt 0x0
	s_clause 0x1
	global_store_b32 v4, v1, s[2:3] offset:312 scale_offset
	global_load_b32 v1, v4, s[0:1] offset:304 scale_offset
	s_wait_loadcnt 0x0
	s_clause 0x1
	global_store_b32 v4, v1, s[2:3] offset:308 scale_offset
	global_load_b32 v1, v4, s[0:1] offset:300 scale_offset
	s_wait_loadcnt 0x0
	s_clause 0x1
	global_store_b32 v4, v1, s[2:3] offset:304 scale_offset
	global_load_b32 v1, v4, s[0:1] offset:296 scale_offset
	s_wait_loadcnt 0x0
	s_clause 0x1
	global_store_b32 v4, v1, s[2:3] offset:300 scale_offset
	global_load_b32 v1, v4, s[0:1] offset:292 scale_offset
	s_wait_loadcnt 0x0
	s_clause 0x1
	global_store_b32 v4, v1, s[2:3] offset:296 scale_offset
	global_load_b32 v1, v4, s[0:1] offset:288 scale_offset
	s_wait_loadcnt 0x0
	s_clause 0x1
	global_store_b32 v4, v1, s[2:3] offset:292 scale_offset
	global_load_b32 v1, v4, s[0:1] offset:284 scale_offset
	s_wait_loadcnt 0x0
	s_clause 0x1
	global_store_b32 v4, v1, s[2:3] offset:288 scale_offset
	global_load_b32 v1, v4, s[0:1] offset:280 scale_offset
	s_wait_loadcnt 0x0
	s_clause 0x1
	global_store_b32 v4, v1, s[2:3] offset:284 scale_offset
	global_load_b32 v1, v4, s[0:1] offset:276 scale_offset
	s_wait_loadcnt 0x0
	s_clause 0x1
	global_store_b32 v4, v1, s[2:3] offset:280 scale_offset
	global_load_b32 v1, v4, s[0:1] offset:272 scale_offset
	s_wait_loadcnt 0x0
	s_clause 0x1
	global_store_b32 v4, v1, s[2:3] offset:276 scale_offset
	global_load_b32 v1, v4, s[0:1] offset:268 scale_offset
	s_wait_loadcnt 0x0
	s_clause 0x1
	global_store_b32 v4, v1, s[2:3] offset:272 scale_offset
	global_load_b32 v1, v4, s[0:1] offset:264 scale_offset
	s_wait_loadcnt 0x0
	s_clause 0x1
	global_store_b32 v4, v1, s[2:3] offset:268 scale_offset
	global_load_b32 v1, v4, s[0:1] offset:260 scale_offset
	s_wait_loadcnt 0x0
	s_clause 0x1
	global_store_b32 v4, v1, s[2:3] offset:264 scale_offset
	global_load_b32 v1, v4, s[0:1] offset:256 scale_offset
	s_wait_loadcnt 0x0
	s_clause 0x1
	global_store_b32 v4, v1, s[2:3] offset:260 scale_offset
	global_load_b32 v1, v4, s[0:1] offset:252 scale_offset
	s_wait_loadcnt 0x0
	s_clause 0x1
	global_store_b32 v4, v1, s[2:3] offset:256 scale_offset
	global_load_b32 v1, v4, s[0:1] offset:248 scale_offset
	s_wait_loadcnt 0x0
	s_clause 0x1
	global_store_b32 v4, v1, s[2:3] offset:252 scale_offset
	global_load_b32 v1, v4, s[0:1] offset:244 scale_offset
	s_wait_loadcnt 0x0
	s_clause 0x1
	global_store_b32 v4, v1, s[2:3] offset:248 scale_offset
	global_load_b32 v1, v4, s[0:1] offset:240 scale_offset
	s_wait_loadcnt 0x0
	s_clause 0x1
	global_store_b32 v4, v1, s[2:3] offset:244 scale_offset
	global_load_b32 v1, v4, s[0:1] offset:236 scale_offset
	s_wait_loadcnt 0x0
	s_clause 0x1
	global_store_b32 v4, v1, s[2:3] offset:240 scale_offset
	global_load_b32 v1, v4, s[0:1] offset:232 scale_offset
	s_wait_loadcnt 0x0
	s_clause 0x1
	global_store_b32 v4, v1, s[2:3] offset:236 scale_offset
	global_load_b32 v1, v4, s[0:1] offset:228 scale_offset
	s_wait_loadcnt 0x0
	s_clause 0x1
	global_store_b32 v4, v1, s[2:3] offset:232 scale_offset
	global_load_b32 v1, v4, s[0:1] offset:224 scale_offset
	s_wait_loadcnt 0x0
	s_clause 0x1
	global_store_b32 v4, v1, s[2:3] offset:228 scale_offset
	global_load_b32 v1, v4, s[0:1] offset:220 scale_offset
	s_wait_loadcnt 0x0
	s_clause 0x1
	global_store_b32 v4, v1, s[2:3] offset:224 scale_offset
	global_load_b32 v1, v4, s[0:1] offset:216 scale_offset
	s_wait_loadcnt 0x0
	s_clause 0x1
	global_store_b32 v4, v1, s[2:3] offset:220 scale_offset
	global_load_b32 v1, v4, s[0:1] offset:212 scale_offset
	s_wait_loadcnt 0x0
	s_clause 0x1
	global_store_b32 v4, v1, s[2:3] offset:216 scale_offset
	global_load_b32 v1, v4, s[0:1] offset:208 scale_offset
	s_wait_loadcnt 0x0
	s_clause 0x1
	global_store_b32 v4, v1, s[2:3] offset:212 scale_offset
	global_load_b32 v1, v4, s[0:1] offset:204 scale_offset
	s_wait_loadcnt 0x0
	s_clause 0x1
	global_store_b32 v4, v1, s[2:3] offset:208 scale_offset
	global_load_b32 v1, v4, s[0:1] offset:200 scale_offset
	s_wait_loadcnt 0x0
	s_clause 0x1
	global_store_b32 v4, v1, s[2:3] offset:204 scale_offset
	global_load_b32 v1, v4, s[0:1] offset:196 scale_offset
	s_wait_loadcnt 0x0
	s_clause 0x1
	global_store_b32 v4, v1, s[2:3] offset:200 scale_offset
	global_load_b32 v1, v4, s[0:1] offset:192 scale_offset
	s_wait_loadcnt 0x0
	s_clause 0x1
	global_store_b32 v4, v1, s[2:3] offset:196 scale_offset
	global_load_b32 v1, v4, s[0:1] offset:188 scale_offset
	s_wait_loadcnt 0x0
	s_clause 0x1
	global_store_b32 v4, v1, s[2:3] offset:192 scale_offset
	global_load_b32 v1, v4, s[0:1] offset:184 scale_offset
	s_wait_loadcnt 0x0
	s_clause 0x1
	global_store_b32 v4, v1, s[2:3] offset:188 scale_offset
	global_load_b32 v1, v4, s[0:1] offset:180 scale_offset
	s_wait_loadcnt 0x0
	s_clause 0x1
	global_store_b32 v4, v1, s[2:3] offset:184 scale_offset
	global_load_b32 v1, v4, s[0:1] offset:176 scale_offset
	s_wait_loadcnt 0x0
	s_clause 0x1
	global_store_b32 v4, v1, s[2:3] offset:180 scale_offset
	global_load_b32 v1, v4, s[0:1] offset:172 scale_offset
	s_wait_loadcnt 0x0
	s_clause 0x1
	global_store_b32 v4, v1, s[2:3] offset:176 scale_offset
	global_load_b32 v1, v4, s[0:1] offset:168 scale_offset
	s_wait_loadcnt 0x0
	s_clause 0x1
	global_store_b32 v4, v1, s[2:3] offset:172 scale_offset
	global_load_b32 v1, v4, s[0:1] offset:164 scale_offset
	s_wait_loadcnt 0x0
	s_clause 0x1
	global_store_b32 v4, v1, s[2:3] offset:168 scale_offset
	global_load_b32 v1, v4, s[0:1] offset:160 scale_offset
	s_wait_loadcnt 0x0
	s_clause 0x1
	global_store_b32 v4, v1, s[2:3] offset:164 scale_offset
	global_load_b32 v1, v4, s[0:1] offset:156 scale_offset
	s_wait_loadcnt 0x0
	s_clause 0x1
	global_store_b32 v4, v1, s[2:3] offset:160 scale_offset
	global_load_b32 v1, v4, s[0:1] offset:152 scale_offset
	s_wait_loadcnt 0x0
	s_clause 0x1
	global_store_b32 v4, v1, s[2:3] offset:156 scale_offset
	global_load_b32 v1, v4, s[0:1] offset:148 scale_offset
	s_wait_loadcnt 0x0
	s_clause 0x1
	global_store_b32 v4, v1, s[2:3] offset:152 scale_offset
	global_load_b32 v1, v4, s[0:1] offset:144 scale_offset
	s_wait_loadcnt 0x0
	s_clause 0x1
	global_store_b32 v4, v1, s[2:3] offset:148 scale_offset
	global_load_b32 v1, v4, s[0:1] offset:140 scale_offset
	s_wait_loadcnt 0x0
	s_clause 0x1
	global_store_b32 v4, v1, s[2:3] offset:144 scale_offset
	global_load_b32 v1, v4, s[0:1] offset:136 scale_offset
	s_wait_loadcnt 0x0
	s_clause 0x1
	global_store_b32 v4, v1, s[2:3] offset:140 scale_offset
	global_load_b32 v1, v4, s[0:1] offset:132 scale_offset
	s_wait_loadcnt 0x0
	s_clause 0x1
	global_store_b32 v4, v1, s[2:3] offset:136 scale_offset
	global_load_b32 v1, v4, s[0:1] offset:128 scale_offset
	s_wait_loadcnt 0x0
	s_clause 0x1
	global_store_b32 v4, v1, s[2:3] offset:132 scale_offset
	global_load_b32 v1, v4, s[0:1] offset:124 scale_offset
	s_wait_loadcnt 0x0
	s_clause 0x1
	global_store_b32 v4, v1, s[2:3] offset:128 scale_offset
	global_load_b32 v1, v4, s[0:1] offset:120 scale_offset
	s_wait_loadcnt 0x0
	s_clause 0x1
	global_store_b32 v4, v1, s[2:3] offset:124 scale_offset
	global_load_b32 v1, v4, s[0:1] offset:116 scale_offset
	s_wait_loadcnt 0x0
	s_clause 0x1
	global_store_b32 v4, v1, s[2:3] offset:120 scale_offset
	global_load_b32 v1, v4, s[0:1] offset:112 scale_offset
	s_wait_loadcnt 0x0
	s_clause 0x1
	global_store_b32 v4, v1, s[2:3] offset:116 scale_offset
	global_load_b32 v1, v4, s[0:1] offset:108 scale_offset
	s_wait_loadcnt 0x0
	s_clause 0x1
	global_store_b32 v4, v1, s[2:3] offset:112 scale_offset
	global_load_b32 v1, v4, s[0:1] offset:104 scale_offset
	s_wait_loadcnt 0x0
	s_clause 0x1
	global_store_b32 v4, v1, s[2:3] offset:108 scale_offset
	global_load_b32 v1, v4, s[0:1] offset:100 scale_offset
	s_wait_loadcnt 0x0
	s_clause 0x1
	global_store_b32 v4, v1, s[2:3] offset:104 scale_offset
	global_load_b32 v1, v4, s[0:1] offset:96 scale_offset
	s_wait_loadcnt 0x0
	s_clause 0x1
	global_store_b32 v4, v1, s[2:3] offset:100 scale_offset
	global_load_b32 v1, v4, s[0:1] offset:92 scale_offset
	s_wait_loadcnt 0x0
	s_clause 0x1
	global_store_b32 v4, v1, s[2:3] offset:96 scale_offset
	global_load_b32 v1, v4, s[0:1] offset:88 scale_offset
	s_wait_loadcnt 0x0
	s_clause 0x1
	global_store_b32 v4, v1, s[2:3] offset:92 scale_offset
	global_load_b32 v1, v4, s[0:1] offset:84 scale_offset
	s_wait_loadcnt 0x0
	s_clause 0x1
	global_store_b32 v4, v1, s[2:3] offset:88 scale_offset
	global_load_b32 v1, v4, s[0:1] offset:80 scale_offset
	s_wait_loadcnt 0x0
	s_clause 0x1
	global_store_b32 v4, v1, s[2:3] offset:84 scale_offset
	global_load_b32 v1, v4, s[0:1] offset:76 scale_offset
	s_wait_loadcnt 0x0
	s_clause 0x1
	global_store_b32 v4, v1, s[2:3] offset:80 scale_offset
	global_load_b32 v1, v4, s[0:1] offset:72 scale_offset
	s_wait_loadcnt 0x0
	s_clause 0x1
	global_store_b32 v4, v1, s[2:3] offset:76 scale_offset
	global_load_b32 v1, v4, s[0:1] offset:68 scale_offset
	s_wait_loadcnt 0x0
	s_clause 0x1
	global_store_b32 v4, v1, s[2:3] offset:72 scale_offset
	global_load_b32 v1, v4, s[0:1] offset:64 scale_offset
	s_wait_loadcnt 0x0
	s_clause 0x1
	global_store_b32 v4, v1, s[2:3] offset:68 scale_offset
	global_load_b32 v1, v4, s[0:1] offset:60 scale_offset
	s_wait_loadcnt 0x0
	s_clause 0x1
	global_store_b32 v4, v1, s[2:3] offset:64 scale_offset
	global_load_b32 v1, v4, s[0:1] offset:56 scale_offset
	s_wait_loadcnt 0x0
	s_clause 0x1
	global_store_b32 v4, v1, s[2:3] offset:60 scale_offset
	global_load_b32 v1, v4, s[0:1] offset:52 scale_offset
	s_wait_loadcnt 0x0
	s_clause 0x1
	global_store_b32 v4, v1, s[2:3] offset:56 scale_offset
	global_load_b32 v1, v4, s[0:1] offset:48 scale_offset
	s_wait_loadcnt 0x0
	s_clause 0x1
	global_store_b32 v4, v1, s[2:3] offset:52 scale_offset
	global_load_b32 v1, v4, s[0:1] offset:44 scale_offset
	s_wait_loadcnt 0x0
	s_clause 0x1
	global_store_b32 v4, v1, s[2:3] offset:48 scale_offset
	global_load_b32 v1, v4, s[0:1] offset:40 scale_offset
	s_wait_loadcnt 0x0
	s_clause 0x1
	global_store_b32 v4, v1, s[2:3] offset:44 scale_offset
	global_load_b32 v1, v4, s[0:1] offset:36 scale_offset
	s_wait_loadcnt 0x0
	s_clause 0x1
	global_store_b32 v4, v1, s[2:3] offset:40 scale_offset
	global_load_b32 v1, v4, s[0:1] offset:32 scale_offset
	s_wait_loadcnt 0x0
	s_clause 0x1
	global_store_b32 v4, v1, s[2:3] offset:36 scale_offset
	global_load_b32 v1, v4, s[0:1] offset:28 scale_offset
	s_wait_loadcnt 0x0
	s_clause 0x1
	global_store_b32 v4, v1, s[2:3] offset:32 scale_offset
	global_load_b32 v1, v4, s[0:1] offset:24 scale_offset
	s_wait_loadcnt 0x0
	s_clause 0x1
	global_store_b32 v4, v1, s[2:3] offset:28 scale_offset
	global_load_b32 v1, v4, s[0:1] offset:20 scale_offset
	s_wait_loadcnt 0x0
	s_clause 0x1
	global_store_b32 v4, v1, s[2:3] offset:24 scale_offset
	global_load_b32 v1, v4, s[0:1] offset:16 scale_offset
	s_wait_loadcnt 0x0
	s_clause 0x1
	global_store_b32 v4, v1, s[2:3] offset:20 scale_offset
	global_load_b32 v1, v4, s[0:1] offset:12 scale_offset
	s_wait_loadcnt 0x0
	s_clause 0x1
	global_store_b32 v4, v1, s[2:3] offset:16 scale_offset
	global_load_b32 v1, v4, s[0:1] offset:8 scale_offset
	s_wait_loadcnt 0x0
	s_clause 0x1
	global_store_b32 v4, v1, s[2:3] offset:12 scale_offset
	global_load_b32 v1, v4, s[0:1] offset:4 scale_offset
	s_wait_loadcnt 0x0
	s_clause 0x1
	global_store_b32 v4, v1, s[2:3] offset:8 scale_offset
	global_load_b32 v5, v4, s[0:1] scale_offset
	s_wait_xcnt 0x1
	v_lshlrev_b32_e32 v1, 2, v0
	s_wait_xcnt 0x0
	s_mov_b32 s0, exec_lo
	ds_store_b32 v1, v7
	s_wait_loadcnt 0x0
	global_store_b32 v4, v5, s[2:3] offset:4 scale_offset
	s_wait_storecnt_dscnt 0x0
	s_barrier_signal -1
	s_barrier_wait -1
	s_wait_xcnt 0x0
	v_cmpx_ne_u32_e32 0, v0
	s_cbranch_execz .LBB41_2
; %bb.1:
	v_add_nc_u32_e32 v0, -4, v1
	ds_load_b32 v4, v0
	v_add_nc_u64_e32 v[0:1], s[2:3], v[2:3]
	s_wait_dscnt 0x0
	global_store_b32 v[0:1], v4, off
.LBB41_2:
	s_endpgm
	.section	.rodata,"a",@progbits
	.p2align	6, 0x0
	.amdhsa_kernel _Z17shuffle_up_kernelILj256ELj128EjEvPT1_S1_
		.amdhsa_group_segment_fixed_size 1024
		.amdhsa_private_segment_fixed_size 0
		.amdhsa_kernarg_size 16
		.amdhsa_user_sgpr_count 2
		.amdhsa_user_sgpr_dispatch_ptr 0
		.amdhsa_user_sgpr_queue_ptr 0
		.amdhsa_user_sgpr_kernarg_segment_ptr 1
		.amdhsa_user_sgpr_dispatch_id 0
		.amdhsa_user_sgpr_kernarg_preload_length 0
		.amdhsa_user_sgpr_kernarg_preload_offset 0
		.amdhsa_user_sgpr_private_segment_size 0
		.amdhsa_wavefront_size32 1
		.amdhsa_uses_dynamic_stack 0
		.amdhsa_enable_private_segment 0
		.amdhsa_system_sgpr_workgroup_id_x 1
		.amdhsa_system_sgpr_workgroup_id_y 0
		.amdhsa_system_sgpr_workgroup_id_z 0
		.amdhsa_system_sgpr_workgroup_info 0
		.amdhsa_system_vgpr_workitem_id 0
		.amdhsa_next_free_vgpr 8
		.amdhsa_next_free_sgpr 7
		.amdhsa_named_barrier_count 0
		.amdhsa_reserve_vcc 0
		.amdhsa_float_round_mode_32 0
		.amdhsa_float_round_mode_16_64 0
		.amdhsa_float_denorm_mode_32 3
		.amdhsa_float_denorm_mode_16_64 3
		.amdhsa_fp16_overflow 0
		.amdhsa_memory_ordered 1
		.amdhsa_forward_progress 1
		.amdhsa_inst_pref_size 34
		.amdhsa_round_robin_scheduling 0
		.amdhsa_exception_fp_ieee_invalid_op 0
		.amdhsa_exception_fp_denorm_src 0
		.amdhsa_exception_fp_ieee_div_zero 0
		.amdhsa_exception_fp_ieee_overflow 0
		.amdhsa_exception_fp_ieee_underflow 0
		.amdhsa_exception_fp_ieee_inexact 0
		.amdhsa_exception_int_div_zero 0
	.end_amdhsa_kernel
	.section	.text._Z17shuffle_up_kernelILj256ELj128EjEvPT1_S1_,"axG",@progbits,_Z17shuffle_up_kernelILj256ELj128EjEvPT1_S1_,comdat
.Lfunc_end41:
	.size	_Z17shuffle_up_kernelILj256ELj128EjEvPT1_S1_, .Lfunc_end41-_Z17shuffle_up_kernelILj256ELj128EjEvPT1_S1_
                                        ; -- End function
	.set _Z17shuffle_up_kernelILj256ELj128EjEvPT1_S1_.num_vgpr, 8
	.set _Z17shuffle_up_kernelILj256ELj128EjEvPT1_S1_.num_agpr, 0
	.set _Z17shuffle_up_kernelILj256ELj128EjEvPT1_S1_.numbered_sgpr, 7
	.set _Z17shuffle_up_kernelILj256ELj128EjEvPT1_S1_.num_named_barrier, 0
	.set _Z17shuffle_up_kernelILj256ELj128EjEvPT1_S1_.private_seg_size, 0
	.set _Z17shuffle_up_kernelILj256ELj128EjEvPT1_S1_.uses_vcc, 0
	.set _Z17shuffle_up_kernelILj256ELj128EjEvPT1_S1_.uses_flat_scratch, 0
	.set _Z17shuffle_up_kernelILj256ELj128EjEvPT1_S1_.has_dyn_sized_stack, 0
	.set _Z17shuffle_up_kernelILj256ELj128EjEvPT1_S1_.has_recursion, 0
	.set _Z17shuffle_up_kernelILj256ELj128EjEvPT1_S1_.has_indirect_call, 0
	.section	.AMDGPU.csdata,"",@progbits
; Kernel info:
; codeLenInByte = 4228
; TotalNumSgprs: 7
; NumVgprs: 8
; ScratchSize: 0
; MemoryBound: 1
; FloatMode: 240
; IeeeMode: 1
; LDSByteSize: 1024 bytes/workgroup (compile time only)
; SGPRBlocks: 0
; VGPRBlocks: 0
; NumSGPRsForWavesPerEU: 7
; NumVGPRsForWavesPerEU: 8
; NamedBarCnt: 0
; Occupancy: 16
; WaveLimiterHint : 1
; COMPUTE_PGM_RSRC2:SCRATCH_EN: 0
; COMPUTE_PGM_RSRC2:USER_SGPR: 2
; COMPUTE_PGM_RSRC2:TRAP_HANDLER: 0
; COMPUTE_PGM_RSRC2:TGID_X_EN: 1
; COMPUTE_PGM_RSRC2:TGID_Y_EN: 0
; COMPUTE_PGM_RSRC2:TGID_Z_EN: 0
; COMPUTE_PGM_RSRC2:TIDIG_COMP_CNT: 0
	.section	.text._Z17shuffle_up_kernelILj64ELj128EjEvPT1_S1_,"axG",@progbits,_Z17shuffle_up_kernelILj64ELj128EjEvPT1_S1_,comdat
	.protected	_Z17shuffle_up_kernelILj64ELj128EjEvPT1_S1_ ; -- Begin function _Z17shuffle_up_kernelILj64ELj128EjEvPT1_S1_
	.globl	_Z17shuffle_up_kernelILj64ELj128EjEvPT1_S1_
	.p2align	8
	.type	_Z17shuffle_up_kernelILj64ELj128EjEvPT1_S1_,@function
_Z17shuffle_up_kernelILj64ELj128EjEvPT1_S1_: ; @_Z17shuffle_up_kernelILj64ELj128EjEvPT1_S1_
; %bb.0:
	s_bfe_u32 s4, ttmp6, 0x4000c
	s_load_b128 s[0:3], s[0:1], 0x0
	s_add_co_i32 s4, s4, 1
	s_and_b32 s5, ttmp6, 15
	s_mul_i32 s4, ttmp9, s4
	s_getreg_b32 s6, hwreg(HW_REG_IB_STS2, 6, 4)
	v_dual_lshlrev_b32 v1, 7, v0 :: v_dual_mov_b32 v5, 0
	s_add_co_i32 s5, s5, s4
	s_cmp_eq_u32 s6, 0
	s_cselect_b32 s4, ttmp9, s5
	s_delay_alu instid0(VALU_DEP_1) | instid1(SALU_CYCLE_1)
	v_lshl_or_b32 v4, s4, 13, v1
	s_delay_alu instid0(VALU_DEP_1) | instskip(SKIP_1) | instid1(VALU_DEP_1)
	v_lshlrev_b64_e32 v[2:3], 2, v[4:5]
	s_wait_kmcnt 0x0
	v_add_nc_u64_e32 v[6:7], s[0:1], v[2:3]
	global_load_b64 v[6:7], v[6:7], off offset:504
	s_wait_loadcnt 0x0
	s_clause 0x1
	global_store_b32 v4, v6, s[2:3] offset:508 scale_offset
	global_load_b32 v1, v4, s[0:1] offset:500 scale_offset
	s_wait_loadcnt 0x0
	s_clause 0x1
	global_store_b32 v4, v1, s[2:3] offset:504 scale_offset
	global_load_b32 v1, v4, s[0:1] offset:496 scale_offset
	s_wait_loadcnt 0x0
	s_clause 0x1
	global_store_b32 v4, v1, s[2:3] offset:500 scale_offset
	global_load_b32 v1, v4, s[0:1] offset:492 scale_offset
	s_wait_loadcnt 0x0
	s_clause 0x1
	global_store_b32 v4, v1, s[2:3] offset:496 scale_offset
	global_load_b32 v1, v4, s[0:1] offset:488 scale_offset
	s_wait_loadcnt 0x0
	s_clause 0x1
	global_store_b32 v4, v1, s[2:3] offset:492 scale_offset
	global_load_b32 v1, v4, s[0:1] offset:484 scale_offset
	s_wait_loadcnt 0x0
	s_clause 0x1
	global_store_b32 v4, v1, s[2:3] offset:488 scale_offset
	global_load_b32 v1, v4, s[0:1] offset:480 scale_offset
	s_wait_loadcnt 0x0
	s_clause 0x1
	global_store_b32 v4, v1, s[2:3] offset:484 scale_offset
	global_load_b32 v1, v4, s[0:1] offset:476 scale_offset
	s_wait_loadcnt 0x0
	s_clause 0x1
	global_store_b32 v4, v1, s[2:3] offset:480 scale_offset
	global_load_b32 v1, v4, s[0:1] offset:472 scale_offset
	s_wait_loadcnt 0x0
	s_clause 0x1
	global_store_b32 v4, v1, s[2:3] offset:476 scale_offset
	global_load_b32 v1, v4, s[0:1] offset:468 scale_offset
	s_wait_loadcnt 0x0
	s_clause 0x1
	global_store_b32 v4, v1, s[2:3] offset:472 scale_offset
	global_load_b32 v1, v4, s[0:1] offset:464 scale_offset
	s_wait_loadcnt 0x0
	s_clause 0x1
	global_store_b32 v4, v1, s[2:3] offset:468 scale_offset
	global_load_b32 v1, v4, s[0:1] offset:460 scale_offset
	s_wait_loadcnt 0x0
	s_clause 0x1
	global_store_b32 v4, v1, s[2:3] offset:464 scale_offset
	global_load_b32 v1, v4, s[0:1] offset:456 scale_offset
	s_wait_loadcnt 0x0
	s_clause 0x1
	global_store_b32 v4, v1, s[2:3] offset:460 scale_offset
	global_load_b32 v1, v4, s[0:1] offset:452 scale_offset
	s_wait_loadcnt 0x0
	s_clause 0x1
	global_store_b32 v4, v1, s[2:3] offset:456 scale_offset
	global_load_b32 v1, v4, s[0:1] offset:448 scale_offset
	s_wait_loadcnt 0x0
	s_clause 0x1
	global_store_b32 v4, v1, s[2:3] offset:452 scale_offset
	global_load_b32 v1, v4, s[0:1] offset:444 scale_offset
	s_wait_loadcnt 0x0
	s_clause 0x1
	global_store_b32 v4, v1, s[2:3] offset:448 scale_offset
	global_load_b32 v1, v4, s[0:1] offset:440 scale_offset
	s_wait_loadcnt 0x0
	s_clause 0x1
	global_store_b32 v4, v1, s[2:3] offset:444 scale_offset
	global_load_b32 v1, v4, s[0:1] offset:436 scale_offset
	s_wait_loadcnt 0x0
	s_clause 0x1
	global_store_b32 v4, v1, s[2:3] offset:440 scale_offset
	global_load_b32 v1, v4, s[0:1] offset:432 scale_offset
	s_wait_loadcnt 0x0
	s_clause 0x1
	global_store_b32 v4, v1, s[2:3] offset:436 scale_offset
	global_load_b32 v1, v4, s[0:1] offset:428 scale_offset
	s_wait_loadcnt 0x0
	s_clause 0x1
	global_store_b32 v4, v1, s[2:3] offset:432 scale_offset
	global_load_b32 v1, v4, s[0:1] offset:424 scale_offset
	s_wait_loadcnt 0x0
	s_clause 0x1
	global_store_b32 v4, v1, s[2:3] offset:428 scale_offset
	global_load_b32 v1, v4, s[0:1] offset:420 scale_offset
	s_wait_loadcnt 0x0
	s_clause 0x1
	global_store_b32 v4, v1, s[2:3] offset:424 scale_offset
	global_load_b32 v1, v4, s[0:1] offset:416 scale_offset
	s_wait_loadcnt 0x0
	s_clause 0x1
	global_store_b32 v4, v1, s[2:3] offset:420 scale_offset
	global_load_b32 v1, v4, s[0:1] offset:412 scale_offset
	s_wait_loadcnt 0x0
	s_clause 0x1
	global_store_b32 v4, v1, s[2:3] offset:416 scale_offset
	global_load_b32 v1, v4, s[0:1] offset:408 scale_offset
	s_wait_loadcnt 0x0
	s_clause 0x1
	global_store_b32 v4, v1, s[2:3] offset:412 scale_offset
	global_load_b32 v1, v4, s[0:1] offset:404 scale_offset
	s_wait_loadcnt 0x0
	s_clause 0x1
	global_store_b32 v4, v1, s[2:3] offset:408 scale_offset
	global_load_b32 v1, v4, s[0:1] offset:400 scale_offset
	s_wait_loadcnt 0x0
	s_clause 0x1
	global_store_b32 v4, v1, s[2:3] offset:404 scale_offset
	global_load_b32 v1, v4, s[0:1] offset:396 scale_offset
	s_wait_loadcnt 0x0
	s_clause 0x1
	global_store_b32 v4, v1, s[2:3] offset:400 scale_offset
	global_load_b32 v1, v4, s[0:1] offset:392 scale_offset
	s_wait_loadcnt 0x0
	s_clause 0x1
	global_store_b32 v4, v1, s[2:3] offset:396 scale_offset
	global_load_b32 v1, v4, s[0:1] offset:388 scale_offset
	s_wait_loadcnt 0x0
	s_clause 0x1
	global_store_b32 v4, v1, s[2:3] offset:392 scale_offset
	global_load_b32 v1, v4, s[0:1] offset:384 scale_offset
	s_wait_loadcnt 0x0
	s_clause 0x1
	global_store_b32 v4, v1, s[2:3] offset:388 scale_offset
	global_load_b32 v1, v4, s[0:1] offset:380 scale_offset
	s_wait_loadcnt 0x0
	s_clause 0x1
	global_store_b32 v4, v1, s[2:3] offset:384 scale_offset
	global_load_b32 v1, v4, s[0:1] offset:376 scale_offset
	s_wait_loadcnt 0x0
	s_clause 0x1
	global_store_b32 v4, v1, s[2:3] offset:380 scale_offset
	global_load_b32 v1, v4, s[0:1] offset:372 scale_offset
	s_wait_loadcnt 0x0
	s_clause 0x1
	global_store_b32 v4, v1, s[2:3] offset:376 scale_offset
	global_load_b32 v1, v4, s[0:1] offset:368 scale_offset
	s_wait_loadcnt 0x0
	s_clause 0x1
	global_store_b32 v4, v1, s[2:3] offset:372 scale_offset
	global_load_b32 v1, v4, s[0:1] offset:364 scale_offset
	s_wait_loadcnt 0x0
	s_clause 0x1
	global_store_b32 v4, v1, s[2:3] offset:368 scale_offset
	global_load_b32 v1, v4, s[0:1] offset:360 scale_offset
	s_wait_loadcnt 0x0
	s_clause 0x1
	global_store_b32 v4, v1, s[2:3] offset:364 scale_offset
	global_load_b32 v1, v4, s[0:1] offset:356 scale_offset
	s_wait_loadcnt 0x0
	s_clause 0x1
	global_store_b32 v4, v1, s[2:3] offset:360 scale_offset
	global_load_b32 v1, v4, s[0:1] offset:352 scale_offset
	s_wait_loadcnt 0x0
	s_clause 0x1
	global_store_b32 v4, v1, s[2:3] offset:356 scale_offset
	global_load_b32 v1, v4, s[0:1] offset:348 scale_offset
	s_wait_loadcnt 0x0
	s_clause 0x1
	global_store_b32 v4, v1, s[2:3] offset:352 scale_offset
	global_load_b32 v1, v4, s[0:1] offset:344 scale_offset
	s_wait_loadcnt 0x0
	s_clause 0x1
	global_store_b32 v4, v1, s[2:3] offset:348 scale_offset
	global_load_b32 v1, v4, s[0:1] offset:340 scale_offset
	s_wait_loadcnt 0x0
	s_clause 0x1
	global_store_b32 v4, v1, s[2:3] offset:344 scale_offset
	global_load_b32 v1, v4, s[0:1] offset:336 scale_offset
	s_wait_loadcnt 0x0
	s_clause 0x1
	global_store_b32 v4, v1, s[2:3] offset:340 scale_offset
	global_load_b32 v1, v4, s[0:1] offset:332 scale_offset
	s_wait_loadcnt 0x0
	s_clause 0x1
	global_store_b32 v4, v1, s[2:3] offset:336 scale_offset
	global_load_b32 v1, v4, s[0:1] offset:328 scale_offset
	s_wait_loadcnt 0x0
	s_clause 0x1
	global_store_b32 v4, v1, s[2:3] offset:332 scale_offset
	global_load_b32 v1, v4, s[0:1] offset:324 scale_offset
	s_wait_loadcnt 0x0
	s_clause 0x1
	global_store_b32 v4, v1, s[2:3] offset:328 scale_offset
	global_load_b32 v1, v4, s[0:1] offset:320 scale_offset
	s_wait_loadcnt 0x0
	s_clause 0x1
	global_store_b32 v4, v1, s[2:3] offset:324 scale_offset
	global_load_b32 v1, v4, s[0:1] offset:316 scale_offset
	s_wait_loadcnt 0x0
	s_clause 0x1
	global_store_b32 v4, v1, s[2:3] offset:320 scale_offset
	global_load_b32 v1, v4, s[0:1] offset:312 scale_offset
	s_wait_loadcnt 0x0
	s_clause 0x1
	global_store_b32 v4, v1, s[2:3] offset:316 scale_offset
	global_load_b32 v1, v4, s[0:1] offset:308 scale_offset
	s_wait_loadcnt 0x0
	s_clause 0x1
	global_store_b32 v4, v1, s[2:3] offset:312 scale_offset
	global_load_b32 v1, v4, s[0:1] offset:304 scale_offset
	s_wait_loadcnt 0x0
	s_clause 0x1
	global_store_b32 v4, v1, s[2:3] offset:308 scale_offset
	global_load_b32 v1, v4, s[0:1] offset:300 scale_offset
	s_wait_loadcnt 0x0
	s_clause 0x1
	global_store_b32 v4, v1, s[2:3] offset:304 scale_offset
	global_load_b32 v1, v4, s[0:1] offset:296 scale_offset
	s_wait_loadcnt 0x0
	s_clause 0x1
	global_store_b32 v4, v1, s[2:3] offset:300 scale_offset
	global_load_b32 v1, v4, s[0:1] offset:292 scale_offset
	s_wait_loadcnt 0x0
	s_clause 0x1
	global_store_b32 v4, v1, s[2:3] offset:296 scale_offset
	global_load_b32 v1, v4, s[0:1] offset:288 scale_offset
	s_wait_loadcnt 0x0
	s_clause 0x1
	global_store_b32 v4, v1, s[2:3] offset:292 scale_offset
	global_load_b32 v1, v4, s[0:1] offset:284 scale_offset
	s_wait_loadcnt 0x0
	s_clause 0x1
	global_store_b32 v4, v1, s[2:3] offset:288 scale_offset
	global_load_b32 v1, v4, s[0:1] offset:280 scale_offset
	s_wait_loadcnt 0x0
	s_clause 0x1
	global_store_b32 v4, v1, s[2:3] offset:284 scale_offset
	global_load_b32 v1, v4, s[0:1] offset:276 scale_offset
	s_wait_loadcnt 0x0
	s_clause 0x1
	global_store_b32 v4, v1, s[2:3] offset:280 scale_offset
	global_load_b32 v1, v4, s[0:1] offset:272 scale_offset
	s_wait_loadcnt 0x0
	s_clause 0x1
	global_store_b32 v4, v1, s[2:3] offset:276 scale_offset
	global_load_b32 v1, v4, s[0:1] offset:268 scale_offset
	s_wait_loadcnt 0x0
	s_clause 0x1
	global_store_b32 v4, v1, s[2:3] offset:272 scale_offset
	global_load_b32 v1, v4, s[0:1] offset:264 scale_offset
	s_wait_loadcnt 0x0
	s_clause 0x1
	global_store_b32 v4, v1, s[2:3] offset:268 scale_offset
	global_load_b32 v1, v4, s[0:1] offset:260 scale_offset
	s_wait_loadcnt 0x0
	s_clause 0x1
	global_store_b32 v4, v1, s[2:3] offset:264 scale_offset
	global_load_b32 v1, v4, s[0:1] offset:256 scale_offset
	s_wait_loadcnt 0x0
	s_clause 0x1
	global_store_b32 v4, v1, s[2:3] offset:260 scale_offset
	global_load_b32 v1, v4, s[0:1] offset:252 scale_offset
	s_wait_loadcnt 0x0
	s_clause 0x1
	global_store_b32 v4, v1, s[2:3] offset:256 scale_offset
	global_load_b32 v1, v4, s[0:1] offset:248 scale_offset
	s_wait_loadcnt 0x0
	s_clause 0x1
	global_store_b32 v4, v1, s[2:3] offset:252 scale_offset
	global_load_b32 v1, v4, s[0:1] offset:244 scale_offset
	s_wait_loadcnt 0x0
	s_clause 0x1
	global_store_b32 v4, v1, s[2:3] offset:248 scale_offset
	global_load_b32 v1, v4, s[0:1] offset:240 scale_offset
	s_wait_loadcnt 0x0
	s_clause 0x1
	global_store_b32 v4, v1, s[2:3] offset:244 scale_offset
	global_load_b32 v1, v4, s[0:1] offset:236 scale_offset
	s_wait_loadcnt 0x0
	s_clause 0x1
	global_store_b32 v4, v1, s[2:3] offset:240 scale_offset
	global_load_b32 v1, v4, s[0:1] offset:232 scale_offset
	s_wait_loadcnt 0x0
	s_clause 0x1
	global_store_b32 v4, v1, s[2:3] offset:236 scale_offset
	global_load_b32 v1, v4, s[0:1] offset:228 scale_offset
	s_wait_loadcnt 0x0
	s_clause 0x1
	global_store_b32 v4, v1, s[2:3] offset:232 scale_offset
	global_load_b32 v1, v4, s[0:1] offset:224 scale_offset
	s_wait_loadcnt 0x0
	s_clause 0x1
	global_store_b32 v4, v1, s[2:3] offset:228 scale_offset
	global_load_b32 v1, v4, s[0:1] offset:220 scale_offset
	s_wait_loadcnt 0x0
	s_clause 0x1
	global_store_b32 v4, v1, s[2:3] offset:224 scale_offset
	global_load_b32 v1, v4, s[0:1] offset:216 scale_offset
	s_wait_loadcnt 0x0
	s_clause 0x1
	global_store_b32 v4, v1, s[2:3] offset:220 scale_offset
	global_load_b32 v1, v4, s[0:1] offset:212 scale_offset
	s_wait_loadcnt 0x0
	s_clause 0x1
	global_store_b32 v4, v1, s[2:3] offset:216 scale_offset
	global_load_b32 v1, v4, s[0:1] offset:208 scale_offset
	s_wait_loadcnt 0x0
	s_clause 0x1
	global_store_b32 v4, v1, s[2:3] offset:212 scale_offset
	global_load_b32 v1, v4, s[0:1] offset:204 scale_offset
	s_wait_loadcnt 0x0
	s_clause 0x1
	global_store_b32 v4, v1, s[2:3] offset:208 scale_offset
	global_load_b32 v1, v4, s[0:1] offset:200 scale_offset
	s_wait_loadcnt 0x0
	s_clause 0x1
	global_store_b32 v4, v1, s[2:3] offset:204 scale_offset
	global_load_b32 v1, v4, s[0:1] offset:196 scale_offset
	s_wait_loadcnt 0x0
	s_clause 0x1
	global_store_b32 v4, v1, s[2:3] offset:200 scale_offset
	global_load_b32 v1, v4, s[0:1] offset:192 scale_offset
	s_wait_loadcnt 0x0
	s_clause 0x1
	global_store_b32 v4, v1, s[2:3] offset:196 scale_offset
	global_load_b32 v1, v4, s[0:1] offset:188 scale_offset
	s_wait_loadcnt 0x0
	s_clause 0x1
	global_store_b32 v4, v1, s[2:3] offset:192 scale_offset
	global_load_b32 v1, v4, s[0:1] offset:184 scale_offset
	s_wait_loadcnt 0x0
	s_clause 0x1
	global_store_b32 v4, v1, s[2:3] offset:188 scale_offset
	global_load_b32 v1, v4, s[0:1] offset:180 scale_offset
	s_wait_loadcnt 0x0
	s_clause 0x1
	global_store_b32 v4, v1, s[2:3] offset:184 scale_offset
	global_load_b32 v1, v4, s[0:1] offset:176 scale_offset
	s_wait_loadcnt 0x0
	s_clause 0x1
	global_store_b32 v4, v1, s[2:3] offset:180 scale_offset
	global_load_b32 v1, v4, s[0:1] offset:172 scale_offset
	s_wait_loadcnt 0x0
	s_clause 0x1
	global_store_b32 v4, v1, s[2:3] offset:176 scale_offset
	global_load_b32 v1, v4, s[0:1] offset:168 scale_offset
	s_wait_loadcnt 0x0
	s_clause 0x1
	global_store_b32 v4, v1, s[2:3] offset:172 scale_offset
	global_load_b32 v1, v4, s[0:1] offset:164 scale_offset
	s_wait_loadcnt 0x0
	s_clause 0x1
	global_store_b32 v4, v1, s[2:3] offset:168 scale_offset
	global_load_b32 v1, v4, s[0:1] offset:160 scale_offset
	s_wait_loadcnt 0x0
	s_clause 0x1
	global_store_b32 v4, v1, s[2:3] offset:164 scale_offset
	global_load_b32 v1, v4, s[0:1] offset:156 scale_offset
	s_wait_loadcnt 0x0
	s_clause 0x1
	global_store_b32 v4, v1, s[2:3] offset:160 scale_offset
	global_load_b32 v1, v4, s[0:1] offset:152 scale_offset
	s_wait_loadcnt 0x0
	s_clause 0x1
	global_store_b32 v4, v1, s[2:3] offset:156 scale_offset
	global_load_b32 v1, v4, s[0:1] offset:148 scale_offset
	s_wait_loadcnt 0x0
	s_clause 0x1
	global_store_b32 v4, v1, s[2:3] offset:152 scale_offset
	global_load_b32 v1, v4, s[0:1] offset:144 scale_offset
	s_wait_loadcnt 0x0
	s_clause 0x1
	global_store_b32 v4, v1, s[2:3] offset:148 scale_offset
	global_load_b32 v1, v4, s[0:1] offset:140 scale_offset
	s_wait_loadcnt 0x0
	s_clause 0x1
	global_store_b32 v4, v1, s[2:3] offset:144 scale_offset
	global_load_b32 v1, v4, s[0:1] offset:136 scale_offset
	s_wait_loadcnt 0x0
	s_clause 0x1
	global_store_b32 v4, v1, s[2:3] offset:140 scale_offset
	global_load_b32 v1, v4, s[0:1] offset:132 scale_offset
	s_wait_loadcnt 0x0
	s_clause 0x1
	global_store_b32 v4, v1, s[2:3] offset:136 scale_offset
	global_load_b32 v1, v4, s[0:1] offset:128 scale_offset
	s_wait_loadcnt 0x0
	s_clause 0x1
	global_store_b32 v4, v1, s[2:3] offset:132 scale_offset
	global_load_b32 v1, v4, s[0:1] offset:124 scale_offset
	s_wait_loadcnt 0x0
	s_clause 0x1
	global_store_b32 v4, v1, s[2:3] offset:128 scale_offset
	global_load_b32 v1, v4, s[0:1] offset:120 scale_offset
	s_wait_loadcnt 0x0
	s_clause 0x1
	global_store_b32 v4, v1, s[2:3] offset:124 scale_offset
	global_load_b32 v1, v4, s[0:1] offset:116 scale_offset
	s_wait_loadcnt 0x0
	s_clause 0x1
	global_store_b32 v4, v1, s[2:3] offset:120 scale_offset
	global_load_b32 v1, v4, s[0:1] offset:112 scale_offset
	s_wait_loadcnt 0x0
	s_clause 0x1
	global_store_b32 v4, v1, s[2:3] offset:116 scale_offset
	global_load_b32 v1, v4, s[0:1] offset:108 scale_offset
	s_wait_loadcnt 0x0
	s_clause 0x1
	global_store_b32 v4, v1, s[2:3] offset:112 scale_offset
	global_load_b32 v1, v4, s[0:1] offset:104 scale_offset
	s_wait_loadcnt 0x0
	s_clause 0x1
	global_store_b32 v4, v1, s[2:3] offset:108 scale_offset
	global_load_b32 v1, v4, s[0:1] offset:100 scale_offset
	s_wait_loadcnt 0x0
	s_clause 0x1
	global_store_b32 v4, v1, s[2:3] offset:104 scale_offset
	global_load_b32 v1, v4, s[0:1] offset:96 scale_offset
	s_wait_loadcnt 0x0
	s_clause 0x1
	global_store_b32 v4, v1, s[2:3] offset:100 scale_offset
	global_load_b32 v1, v4, s[0:1] offset:92 scale_offset
	s_wait_loadcnt 0x0
	s_clause 0x1
	global_store_b32 v4, v1, s[2:3] offset:96 scale_offset
	global_load_b32 v1, v4, s[0:1] offset:88 scale_offset
	s_wait_loadcnt 0x0
	s_clause 0x1
	global_store_b32 v4, v1, s[2:3] offset:92 scale_offset
	global_load_b32 v1, v4, s[0:1] offset:84 scale_offset
	s_wait_loadcnt 0x0
	s_clause 0x1
	global_store_b32 v4, v1, s[2:3] offset:88 scale_offset
	global_load_b32 v1, v4, s[0:1] offset:80 scale_offset
	s_wait_loadcnt 0x0
	s_clause 0x1
	global_store_b32 v4, v1, s[2:3] offset:84 scale_offset
	global_load_b32 v1, v4, s[0:1] offset:76 scale_offset
	s_wait_loadcnt 0x0
	s_clause 0x1
	global_store_b32 v4, v1, s[2:3] offset:80 scale_offset
	global_load_b32 v1, v4, s[0:1] offset:72 scale_offset
	s_wait_loadcnt 0x0
	s_clause 0x1
	global_store_b32 v4, v1, s[2:3] offset:76 scale_offset
	global_load_b32 v1, v4, s[0:1] offset:68 scale_offset
	s_wait_loadcnt 0x0
	s_clause 0x1
	global_store_b32 v4, v1, s[2:3] offset:72 scale_offset
	global_load_b32 v1, v4, s[0:1] offset:64 scale_offset
	s_wait_loadcnt 0x0
	s_clause 0x1
	global_store_b32 v4, v1, s[2:3] offset:68 scale_offset
	global_load_b32 v1, v4, s[0:1] offset:60 scale_offset
	s_wait_loadcnt 0x0
	s_clause 0x1
	global_store_b32 v4, v1, s[2:3] offset:64 scale_offset
	global_load_b32 v1, v4, s[0:1] offset:56 scale_offset
	s_wait_loadcnt 0x0
	s_clause 0x1
	global_store_b32 v4, v1, s[2:3] offset:60 scale_offset
	global_load_b32 v1, v4, s[0:1] offset:52 scale_offset
	s_wait_loadcnt 0x0
	s_clause 0x1
	global_store_b32 v4, v1, s[2:3] offset:56 scale_offset
	global_load_b32 v1, v4, s[0:1] offset:48 scale_offset
	s_wait_loadcnt 0x0
	s_clause 0x1
	global_store_b32 v4, v1, s[2:3] offset:52 scale_offset
	global_load_b32 v1, v4, s[0:1] offset:44 scale_offset
	s_wait_loadcnt 0x0
	s_clause 0x1
	global_store_b32 v4, v1, s[2:3] offset:48 scale_offset
	global_load_b32 v1, v4, s[0:1] offset:40 scale_offset
	s_wait_loadcnt 0x0
	s_clause 0x1
	global_store_b32 v4, v1, s[2:3] offset:44 scale_offset
	global_load_b32 v1, v4, s[0:1] offset:36 scale_offset
	s_wait_loadcnt 0x0
	s_clause 0x1
	global_store_b32 v4, v1, s[2:3] offset:40 scale_offset
	global_load_b32 v1, v4, s[0:1] offset:32 scale_offset
	s_wait_loadcnt 0x0
	s_clause 0x1
	global_store_b32 v4, v1, s[2:3] offset:36 scale_offset
	global_load_b32 v1, v4, s[0:1] offset:28 scale_offset
	s_wait_loadcnt 0x0
	s_clause 0x1
	global_store_b32 v4, v1, s[2:3] offset:32 scale_offset
	global_load_b32 v1, v4, s[0:1] offset:24 scale_offset
	s_wait_loadcnt 0x0
	s_clause 0x1
	global_store_b32 v4, v1, s[2:3] offset:28 scale_offset
	global_load_b32 v1, v4, s[0:1] offset:20 scale_offset
	s_wait_loadcnt 0x0
	s_clause 0x1
	global_store_b32 v4, v1, s[2:3] offset:24 scale_offset
	global_load_b32 v1, v4, s[0:1] offset:16 scale_offset
	s_wait_loadcnt 0x0
	s_clause 0x1
	global_store_b32 v4, v1, s[2:3] offset:20 scale_offset
	global_load_b32 v1, v4, s[0:1] offset:12 scale_offset
	s_wait_loadcnt 0x0
	s_clause 0x1
	global_store_b32 v4, v1, s[2:3] offset:16 scale_offset
	global_load_b32 v1, v4, s[0:1] offset:8 scale_offset
	s_wait_loadcnt 0x0
	s_clause 0x1
	global_store_b32 v4, v1, s[2:3] offset:12 scale_offset
	global_load_b32 v1, v4, s[0:1] offset:4 scale_offset
	s_wait_loadcnt 0x0
	s_clause 0x1
	global_store_b32 v4, v1, s[2:3] offset:8 scale_offset
	global_load_b32 v5, v4, s[0:1] scale_offset
	s_wait_xcnt 0x1
	v_lshlrev_b32_e32 v1, 2, v0
	s_wait_xcnt 0x0
	s_mov_b32 s0, exec_lo
	ds_store_b32 v1, v7
	s_wait_loadcnt 0x0
	global_store_b32 v4, v5, s[2:3] offset:4 scale_offset
	s_wait_storecnt_dscnt 0x0
	s_barrier_signal -1
	s_barrier_wait -1
	s_wait_xcnt 0x0
	v_cmpx_ne_u32_e32 0, v0
	s_cbranch_execz .LBB42_2
; %bb.1:
	v_add_nc_u32_e32 v0, -4, v1
	ds_load_b32 v4, v0
	v_add_nc_u64_e32 v[0:1], s[2:3], v[2:3]
	s_wait_dscnt 0x0
	global_store_b32 v[0:1], v4, off
.LBB42_2:
	s_endpgm
	.section	.rodata,"a",@progbits
	.p2align	6, 0x0
	.amdhsa_kernel _Z17shuffle_up_kernelILj64ELj128EjEvPT1_S1_
		.amdhsa_group_segment_fixed_size 256
		.amdhsa_private_segment_fixed_size 0
		.amdhsa_kernarg_size 16
		.amdhsa_user_sgpr_count 2
		.amdhsa_user_sgpr_dispatch_ptr 0
		.amdhsa_user_sgpr_queue_ptr 0
		.amdhsa_user_sgpr_kernarg_segment_ptr 1
		.amdhsa_user_sgpr_dispatch_id 0
		.amdhsa_user_sgpr_kernarg_preload_length 0
		.amdhsa_user_sgpr_kernarg_preload_offset 0
		.amdhsa_user_sgpr_private_segment_size 0
		.amdhsa_wavefront_size32 1
		.amdhsa_uses_dynamic_stack 0
		.amdhsa_enable_private_segment 0
		.amdhsa_system_sgpr_workgroup_id_x 1
		.amdhsa_system_sgpr_workgroup_id_y 0
		.amdhsa_system_sgpr_workgroup_id_z 0
		.amdhsa_system_sgpr_workgroup_info 0
		.amdhsa_system_vgpr_workitem_id 0
		.amdhsa_next_free_vgpr 8
		.amdhsa_next_free_sgpr 7
		.amdhsa_named_barrier_count 0
		.amdhsa_reserve_vcc 0
		.amdhsa_float_round_mode_32 0
		.amdhsa_float_round_mode_16_64 0
		.amdhsa_float_denorm_mode_32 3
		.amdhsa_float_denorm_mode_16_64 3
		.amdhsa_fp16_overflow 0
		.amdhsa_memory_ordered 1
		.amdhsa_forward_progress 1
		.amdhsa_inst_pref_size 34
		.amdhsa_round_robin_scheduling 0
		.amdhsa_exception_fp_ieee_invalid_op 0
		.amdhsa_exception_fp_denorm_src 0
		.amdhsa_exception_fp_ieee_div_zero 0
		.amdhsa_exception_fp_ieee_overflow 0
		.amdhsa_exception_fp_ieee_underflow 0
		.amdhsa_exception_fp_ieee_inexact 0
		.amdhsa_exception_int_div_zero 0
	.end_amdhsa_kernel
	.section	.text._Z17shuffle_up_kernelILj64ELj128EjEvPT1_S1_,"axG",@progbits,_Z17shuffle_up_kernelILj64ELj128EjEvPT1_S1_,comdat
.Lfunc_end42:
	.size	_Z17shuffle_up_kernelILj64ELj128EjEvPT1_S1_, .Lfunc_end42-_Z17shuffle_up_kernelILj64ELj128EjEvPT1_S1_
                                        ; -- End function
	.set _Z17shuffle_up_kernelILj64ELj128EjEvPT1_S1_.num_vgpr, 8
	.set _Z17shuffle_up_kernelILj64ELj128EjEvPT1_S1_.num_agpr, 0
	.set _Z17shuffle_up_kernelILj64ELj128EjEvPT1_S1_.numbered_sgpr, 7
	.set _Z17shuffle_up_kernelILj64ELj128EjEvPT1_S1_.num_named_barrier, 0
	.set _Z17shuffle_up_kernelILj64ELj128EjEvPT1_S1_.private_seg_size, 0
	.set _Z17shuffle_up_kernelILj64ELj128EjEvPT1_S1_.uses_vcc, 0
	.set _Z17shuffle_up_kernelILj64ELj128EjEvPT1_S1_.uses_flat_scratch, 0
	.set _Z17shuffle_up_kernelILj64ELj128EjEvPT1_S1_.has_dyn_sized_stack, 0
	.set _Z17shuffle_up_kernelILj64ELj128EjEvPT1_S1_.has_recursion, 0
	.set _Z17shuffle_up_kernelILj64ELj128EjEvPT1_S1_.has_indirect_call, 0
	.section	.AMDGPU.csdata,"",@progbits
; Kernel info:
; codeLenInByte = 4228
; TotalNumSgprs: 7
; NumVgprs: 8
; ScratchSize: 0
; MemoryBound: 1
; FloatMode: 240
; IeeeMode: 1
; LDSByteSize: 256 bytes/workgroup (compile time only)
; SGPRBlocks: 0
; VGPRBlocks: 0
; NumSGPRsForWavesPerEU: 7
; NumVGPRsForWavesPerEU: 8
; NamedBarCnt: 0
; Occupancy: 16
; WaveLimiterHint : 1
; COMPUTE_PGM_RSRC2:SCRATCH_EN: 0
; COMPUTE_PGM_RSRC2:USER_SGPR: 2
; COMPUTE_PGM_RSRC2:TRAP_HANDLER: 0
; COMPUTE_PGM_RSRC2:TGID_X_EN: 1
; COMPUTE_PGM_RSRC2:TGID_Y_EN: 0
; COMPUTE_PGM_RSRC2:TGID_Z_EN: 0
; COMPUTE_PGM_RSRC2:TIDIG_COMP_CNT: 0
	.section	.text._Z17shuffle_up_kernelILj255ELj128EiEvPT1_S1_,"axG",@progbits,_Z17shuffle_up_kernelILj255ELj128EiEvPT1_S1_,comdat
	.protected	_Z17shuffle_up_kernelILj255ELj128EiEvPT1_S1_ ; -- Begin function _Z17shuffle_up_kernelILj255ELj128EiEvPT1_S1_
	.globl	_Z17shuffle_up_kernelILj255ELj128EiEvPT1_S1_
	.p2align	8
	.type	_Z17shuffle_up_kernelILj255ELj128EiEvPT1_S1_,@function
_Z17shuffle_up_kernelILj255ELj128EiEvPT1_S1_: ; @_Z17shuffle_up_kernelILj255ELj128EiEvPT1_S1_
; %bb.0:
	s_bfe_u32 s4, ttmp6, 0x4000c
	s_and_b32 s5, ttmp6, 15
	s_add_co_i32 s4, s4, 1
	s_load_b128 s[0:3], s[0:1], 0x0
	s_mul_i32 s4, ttmp9, s4
	s_getreg_b32 s6, hwreg(HW_REG_IB_STS2, 6, 4)
	s_add_co_i32 s5, s5, s4
	s_cmp_eq_u32 s6, 0
	v_mov_b32_e32 v5, 0
	s_cselect_b32 s4, ttmp9, s5
	s_delay_alu instid0(SALU_CYCLE_1) | instskip(NEXT) | instid1(SALU_CYCLE_1)
	s_mulk_i32 s4, 0xff
	v_add_lshl_u32 v4, s4, v0, 7
	s_delay_alu instid0(VALU_DEP_1) | instskip(SKIP_1) | instid1(VALU_DEP_1)
	v_lshlrev_b64_e32 v[2:3], 2, v[4:5]
	s_wait_kmcnt 0x0
	v_add_nc_u64_e32 v[6:7], s[0:1], v[2:3]
	global_load_b64 v[6:7], v[6:7], off offset:504
	s_wait_loadcnt 0x0
	s_clause 0x1
	global_store_b32 v4, v6, s[2:3] offset:508 scale_offset
	global_load_b32 v1, v4, s[0:1] offset:500 scale_offset
	s_wait_loadcnt 0x0
	s_clause 0x1
	global_store_b32 v4, v1, s[2:3] offset:504 scale_offset
	global_load_b32 v1, v4, s[0:1] offset:496 scale_offset
	;; [unrolled: 4-line block ×125, first 2 shown]
	s_wait_loadcnt 0x0
	s_clause 0x1
	global_store_b32 v4, v1, s[2:3] offset:8 scale_offset
	global_load_b32 v5, v4, s[0:1] scale_offset
	s_wait_xcnt 0x1
	v_lshlrev_b32_e32 v1, 2, v0
	s_wait_xcnt 0x0
	s_mov_b32 s0, exec_lo
	ds_store_b32 v1, v7
	s_wait_loadcnt 0x0
	global_store_b32 v4, v5, s[2:3] offset:4 scale_offset
	s_wait_storecnt_dscnt 0x0
	s_barrier_signal -1
	s_barrier_wait -1
	s_wait_xcnt 0x0
	v_cmpx_ne_u32_e32 0, v0
	s_cbranch_execz .LBB43_2
; %bb.1:
	v_add_nc_u32_e32 v0, -4, v1
	ds_load_b32 v4, v0
	v_add_nc_u64_e32 v[0:1], s[2:3], v[2:3]
	s_wait_dscnt 0x0
	global_store_b32 v[0:1], v4, off
.LBB43_2:
	s_endpgm
	.section	.rodata,"a",@progbits
	.p2align	6, 0x0
	.amdhsa_kernel _Z17shuffle_up_kernelILj255ELj128EiEvPT1_S1_
		.amdhsa_group_segment_fixed_size 1020
		.amdhsa_private_segment_fixed_size 0
		.amdhsa_kernarg_size 16
		.amdhsa_user_sgpr_count 2
		.amdhsa_user_sgpr_dispatch_ptr 0
		.amdhsa_user_sgpr_queue_ptr 0
		.amdhsa_user_sgpr_kernarg_segment_ptr 1
		.amdhsa_user_sgpr_dispatch_id 0
		.amdhsa_user_sgpr_kernarg_preload_length 0
		.amdhsa_user_sgpr_kernarg_preload_offset 0
		.amdhsa_user_sgpr_private_segment_size 0
		.amdhsa_wavefront_size32 1
		.amdhsa_uses_dynamic_stack 0
		.amdhsa_enable_private_segment 0
		.amdhsa_system_sgpr_workgroup_id_x 1
		.amdhsa_system_sgpr_workgroup_id_y 0
		.amdhsa_system_sgpr_workgroup_id_z 0
		.amdhsa_system_sgpr_workgroup_info 0
		.amdhsa_system_vgpr_workitem_id 0
		.amdhsa_next_free_vgpr 8
		.amdhsa_next_free_sgpr 7
		.amdhsa_named_barrier_count 0
		.amdhsa_reserve_vcc 0
		.amdhsa_float_round_mode_32 0
		.amdhsa_float_round_mode_16_64 0
		.amdhsa_float_denorm_mode_32 3
		.amdhsa_float_denorm_mode_16_64 3
		.amdhsa_fp16_overflow 0
		.amdhsa_memory_ordered 1
		.amdhsa_forward_progress 1
		.amdhsa_inst_pref_size 33
		.amdhsa_round_robin_scheduling 0
		.amdhsa_exception_fp_ieee_invalid_op 0
		.amdhsa_exception_fp_denorm_src 0
		.amdhsa_exception_fp_ieee_div_zero 0
		.amdhsa_exception_fp_ieee_overflow 0
		.amdhsa_exception_fp_ieee_underflow 0
		.amdhsa_exception_fp_ieee_inexact 0
		.amdhsa_exception_int_div_zero 0
	.end_amdhsa_kernel
	.section	.text._Z17shuffle_up_kernelILj255ELj128EiEvPT1_S1_,"axG",@progbits,_Z17shuffle_up_kernelILj255ELj128EiEvPT1_S1_,comdat
.Lfunc_end43:
	.size	_Z17shuffle_up_kernelILj255ELj128EiEvPT1_S1_, .Lfunc_end43-_Z17shuffle_up_kernelILj255ELj128EiEvPT1_S1_
                                        ; -- End function
	.set _Z17shuffle_up_kernelILj255ELj128EiEvPT1_S1_.num_vgpr, 8
	.set _Z17shuffle_up_kernelILj255ELj128EiEvPT1_S1_.num_agpr, 0
	.set _Z17shuffle_up_kernelILj255ELj128EiEvPT1_S1_.numbered_sgpr, 7
	.set _Z17shuffle_up_kernelILj255ELj128EiEvPT1_S1_.num_named_barrier, 0
	.set _Z17shuffle_up_kernelILj255ELj128EiEvPT1_S1_.private_seg_size, 0
	.set _Z17shuffle_up_kernelILj255ELj128EiEvPT1_S1_.uses_vcc, 0
	.set _Z17shuffle_up_kernelILj255ELj128EiEvPT1_S1_.uses_flat_scratch, 0
	.set _Z17shuffle_up_kernelILj255ELj128EiEvPT1_S1_.has_dyn_sized_stack, 0
	.set _Z17shuffle_up_kernelILj255ELj128EiEvPT1_S1_.has_recursion, 0
	.set _Z17shuffle_up_kernelILj255ELj128EiEvPT1_S1_.has_indirect_call, 0
	.section	.AMDGPU.csdata,"",@progbits
; Kernel info:
; codeLenInByte = 4224
; TotalNumSgprs: 7
; NumVgprs: 8
; ScratchSize: 0
; MemoryBound: 1
; FloatMode: 240
; IeeeMode: 1
; LDSByteSize: 1020 bytes/workgroup (compile time only)
; SGPRBlocks: 0
; VGPRBlocks: 0
; NumSGPRsForWavesPerEU: 7
; NumVGPRsForWavesPerEU: 8
; NamedBarCnt: 0
; Occupancy: 16
; WaveLimiterHint : 1
; COMPUTE_PGM_RSRC2:SCRATCH_EN: 0
; COMPUTE_PGM_RSRC2:USER_SGPR: 2
; COMPUTE_PGM_RSRC2:TRAP_HANDLER: 0
; COMPUTE_PGM_RSRC2:TGID_X_EN: 1
; COMPUTE_PGM_RSRC2:TGID_Y_EN: 0
; COMPUTE_PGM_RSRC2:TGID_Z_EN: 0
; COMPUTE_PGM_RSRC2:TIDIG_COMP_CNT: 0
	.section	.text._Z17shuffle_up_kernelILj162ELj128EiEvPT1_S1_,"axG",@progbits,_Z17shuffle_up_kernelILj162ELj128EiEvPT1_S1_,comdat
	.protected	_Z17shuffle_up_kernelILj162ELj128EiEvPT1_S1_ ; -- Begin function _Z17shuffle_up_kernelILj162ELj128EiEvPT1_S1_
	.globl	_Z17shuffle_up_kernelILj162ELj128EiEvPT1_S1_
	.p2align	8
	.type	_Z17shuffle_up_kernelILj162ELj128EiEvPT1_S1_,@function
_Z17shuffle_up_kernelILj162ELj128EiEvPT1_S1_: ; @_Z17shuffle_up_kernelILj162ELj128EiEvPT1_S1_
; %bb.0:
	s_bfe_u32 s4, ttmp6, 0x4000c
	s_and_b32 s5, ttmp6, 15
	s_add_co_i32 s4, s4, 1
	s_load_b128 s[0:3], s[0:1], 0x0
	s_mul_i32 s4, ttmp9, s4
	s_getreg_b32 s6, hwreg(HW_REG_IB_STS2, 6, 4)
	s_add_co_i32 s5, s5, s4
	s_cmp_eq_u32 s6, 0
	v_mov_b32_e32 v5, 0
	s_cselect_b32 s4, ttmp9, s5
	s_delay_alu instid0(SALU_CYCLE_1) | instskip(NEXT) | instid1(SALU_CYCLE_1)
	s_mulk_i32 s4, 0xa2
	v_add_lshl_u32 v4, s4, v0, 7
	s_delay_alu instid0(VALU_DEP_1) | instskip(SKIP_1) | instid1(VALU_DEP_1)
	v_lshlrev_b64_e32 v[2:3], 2, v[4:5]
	s_wait_kmcnt 0x0
	v_add_nc_u64_e32 v[6:7], s[0:1], v[2:3]
	global_load_b64 v[6:7], v[6:7], off offset:504
	s_wait_loadcnt 0x0
	s_clause 0x1
	global_store_b32 v4, v6, s[2:3] offset:508 scale_offset
	global_load_b32 v1, v4, s[0:1] offset:500 scale_offset
	s_wait_loadcnt 0x0
	s_clause 0x1
	global_store_b32 v4, v1, s[2:3] offset:504 scale_offset
	global_load_b32 v1, v4, s[0:1] offset:496 scale_offset
	;; [unrolled: 4-line block ×125, first 2 shown]
	s_wait_loadcnt 0x0
	s_clause 0x1
	global_store_b32 v4, v1, s[2:3] offset:8 scale_offset
	global_load_b32 v5, v4, s[0:1] scale_offset
	s_wait_xcnt 0x1
	v_lshlrev_b32_e32 v1, 2, v0
	s_wait_xcnt 0x0
	s_mov_b32 s0, exec_lo
	ds_store_b32 v1, v7
	s_wait_loadcnt 0x0
	global_store_b32 v4, v5, s[2:3] offset:4 scale_offset
	s_wait_storecnt_dscnt 0x0
	s_barrier_signal -1
	s_barrier_wait -1
	s_wait_xcnt 0x0
	v_cmpx_ne_u32_e32 0, v0
	s_cbranch_execz .LBB44_2
; %bb.1:
	v_add_nc_u32_e32 v0, -4, v1
	ds_load_b32 v4, v0
	v_add_nc_u64_e32 v[0:1], s[2:3], v[2:3]
	s_wait_dscnt 0x0
	global_store_b32 v[0:1], v4, off
.LBB44_2:
	s_endpgm
	.section	.rodata,"a",@progbits
	.p2align	6, 0x0
	.amdhsa_kernel _Z17shuffle_up_kernelILj162ELj128EiEvPT1_S1_
		.amdhsa_group_segment_fixed_size 648
		.amdhsa_private_segment_fixed_size 0
		.amdhsa_kernarg_size 16
		.amdhsa_user_sgpr_count 2
		.amdhsa_user_sgpr_dispatch_ptr 0
		.amdhsa_user_sgpr_queue_ptr 0
		.amdhsa_user_sgpr_kernarg_segment_ptr 1
		.amdhsa_user_sgpr_dispatch_id 0
		.amdhsa_user_sgpr_kernarg_preload_length 0
		.amdhsa_user_sgpr_kernarg_preload_offset 0
		.amdhsa_user_sgpr_private_segment_size 0
		.amdhsa_wavefront_size32 1
		.amdhsa_uses_dynamic_stack 0
		.amdhsa_enable_private_segment 0
		.amdhsa_system_sgpr_workgroup_id_x 1
		.amdhsa_system_sgpr_workgroup_id_y 0
		.amdhsa_system_sgpr_workgroup_id_z 0
		.amdhsa_system_sgpr_workgroup_info 0
		.amdhsa_system_vgpr_workitem_id 0
		.amdhsa_next_free_vgpr 8
		.amdhsa_next_free_sgpr 7
		.amdhsa_named_barrier_count 0
		.amdhsa_reserve_vcc 0
		.amdhsa_float_round_mode_32 0
		.amdhsa_float_round_mode_16_64 0
		.amdhsa_float_denorm_mode_32 3
		.amdhsa_float_denorm_mode_16_64 3
		.amdhsa_fp16_overflow 0
		.amdhsa_memory_ordered 1
		.amdhsa_forward_progress 1
		.amdhsa_inst_pref_size 33
		.amdhsa_round_robin_scheduling 0
		.amdhsa_exception_fp_ieee_invalid_op 0
		.amdhsa_exception_fp_denorm_src 0
		.amdhsa_exception_fp_ieee_div_zero 0
		.amdhsa_exception_fp_ieee_overflow 0
		.amdhsa_exception_fp_ieee_underflow 0
		.amdhsa_exception_fp_ieee_inexact 0
		.amdhsa_exception_int_div_zero 0
	.end_amdhsa_kernel
	.section	.text._Z17shuffle_up_kernelILj162ELj128EiEvPT1_S1_,"axG",@progbits,_Z17shuffle_up_kernelILj162ELj128EiEvPT1_S1_,comdat
.Lfunc_end44:
	.size	_Z17shuffle_up_kernelILj162ELj128EiEvPT1_S1_, .Lfunc_end44-_Z17shuffle_up_kernelILj162ELj128EiEvPT1_S1_
                                        ; -- End function
	.set _Z17shuffle_up_kernelILj162ELj128EiEvPT1_S1_.num_vgpr, 8
	.set _Z17shuffle_up_kernelILj162ELj128EiEvPT1_S1_.num_agpr, 0
	.set _Z17shuffle_up_kernelILj162ELj128EiEvPT1_S1_.numbered_sgpr, 7
	.set _Z17shuffle_up_kernelILj162ELj128EiEvPT1_S1_.num_named_barrier, 0
	.set _Z17shuffle_up_kernelILj162ELj128EiEvPT1_S1_.private_seg_size, 0
	.set _Z17shuffle_up_kernelILj162ELj128EiEvPT1_S1_.uses_vcc, 0
	.set _Z17shuffle_up_kernelILj162ELj128EiEvPT1_S1_.uses_flat_scratch, 0
	.set _Z17shuffle_up_kernelILj162ELj128EiEvPT1_S1_.has_dyn_sized_stack, 0
	.set _Z17shuffle_up_kernelILj162ELj128EiEvPT1_S1_.has_recursion, 0
	.set _Z17shuffle_up_kernelILj162ELj128EiEvPT1_S1_.has_indirect_call, 0
	.section	.AMDGPU.csdata,"",@progbits
; Kernel info:
; codeLenInByte = 4224
; TotalNumSgprs: 7
; NumVgprs: 8
; ScratchSize: 0
; MemoryBound: 1
; FloatMode: 240
; IeeeMode: 1
; LDSByteSize: 648 bytes/workgroup (compile time only)
; SGPRBlocks: 0
; VGPRBlocks: 0
; NumSGPRsForWavesPerEU: 7
; NumVGPRsForWavesPerEU: 8
; NamedBarCnt: 0
; Occupancy: 16
; WaveLimiterHint : 1
; COMPUTE_PGM_RSRC2:SCRATCH_EN: 0
; COMPUTE_PGM_RSRC2:USER_SGPR: 2
; COMPUTE_PGM_RSRC2:TRAP_HANDLER: 0
; COMPUTE_PGM_RSRC2:TGID_X_EN: 1
; COMPUTE_PGM_RSRC2:TGID_Y_EN: 0
; COMPUTE_PGM_RSRC2:TGID_Z_EN: 0
; COMPUTE_PGM_RSRC2:TIDIG_COMP_CNT: 0
	.section	.text._Z17shuffle_up_kernelILj37ELj128EiEvPT1_S1_,"axG",@progbits,_Z17shuffle_up_kernelILj37ELj128EiEvPT1_S1_,comdat
	.protected	_Z17shuffle_up_kernelILj37ELj128EiEvPT1_S1_ ; -- Begin function _Z17shuffle_up_kernelILj37ELj128EiEvPT1_S1_
	.globl	_Z17shuffle_up_kernelILj37ELj128EiEvPT1_S1_
	.p2align	8
	.type	_Z17shuffle_up_kernelILj37ELj128EiEvPT1_S1_,@function
_Z17shuffle_up_kernelILj37ELj128EiEvPT1_S1_: ; @_Z17shuffle_up_kernelILj37ELj128EiEvPT1_S1_
; %bb.0:
	s_bfe_u32 s4, ttmp6, 0x4000c
	s_and_b32 s5, ttmp6, 15
	s_add_co_i32 s4, s4, 1
	s_load_b128 s[0:3], s[0:1], 0x0
	s_mul_i32 s4, ttmp9, s4
	s_getreg_b32 s6, hwreg(HW_REG_IB_STS2, 6, 4)
	s_add_co_i32 s5, s5, s4
	s_cmp_eq_u32 s6, 0
	v_mov_b32_e32 v5, 0
	s_cselect_b32 s4, ttmp9, s5
	s_delay_alu instid0(SALU_CYCLE_1) | instskip(NEXT) | instid1(SALU_CYCLE_1)
	s_mul_i32 s4, s4, 37
	v_add_lshl_u32 v4, s4, v0, 7
	s_delay_alu instid0(VALU_DEP_1) | instskip(SKIP_1) | instid1(VALU_DEP_1)
	v_lshlrev_b64_e32 v[2:3], 2, v[4:5]
	s_wait_kmcnt 0x0
	v_add_nc_u64_e32 v[6:7], s[0:1], v[2:3]
	global_load_b64 v[6:7], v[6:7], off offset:504
	s_wait_loadcnt 0x0
	s_clause 0x1
	global_store_b32 v4, v6, s[2:3] offset:508 scale_offset
	global_load_b32 v1, v4, s[0:1] offset:500 scale_offset
	s_wait_loadcnt 0x0
	s_clause 0x1
	global_store_b32 v4, v1, s[2:3] offset:504 scale_offset
	global_load_b32 v1, v4, s[0:1] offset:496 scale_offset
	;; [unrolled: 4-line block ×125, first 2 shown]
	s_wait_loadcnt 0x0
	s_clause 0x1
	global_store_b32 v4, v1, s[2:3] offset:8 scale_offset
	global_load_b32 v5, v4, s[0:1] scale_offset
	s_wait_xcnt 0x1
	v_lshlrev_b32_e32 v1, 2, v0
	s_wait_xcnt 0x0
	s_mov_b32 s0, exec_lo
	ds_store_b32 v1, v7
	s_wait_loadcnt 0x0
	global_store_b32 v4, v5, s[2:3] offset:4 scale_offset
	s_wait_storecnt_dscnt 0x0
	s_barrier_signal -1
	s_barrier_wait -1
	s_wait_xcnt 0x0
	v_cmpx_ne_u32_e32 0, v0
	s_cbranch_execz .LBB45_2
; %bb.1:
	v_add_nc_u32_e32 v0, -4, v1
	ds_load_b32 v4, v0
	v_add_nc_u64_e32 v[0:1], s[2:3], v[2:3]
	s_wait_dscnt 0x0
	global_store_b32 v[0:1], v4, off
.LBB45_2:
	s_endpgm
	.section	.rodata,"a",@progbits
	.p2align	6, 0x0
	.amdhsa_kernel _Z17shuffle_up_kernelILj37ELj128EiEvPT1_S1_
		.amdhsa_group_segment_fixed_size 148
		.amdhsa_private_segment_fixed_size 0
		.amdhsa_kernarg_size 16
		.amdhsa_user_sgpr_count 2
		.amdhsa_user_sgpr_dispatch_ptr 0
		.amdhsa_user_sgpr_queue_ptr 0
		.amdhsa_user_sgpr_kernarg_segment_ptr 1
		.amdhsa_user_sgpr_dispatch_id 0
		.amdhsa_user_sgpr_kernarg_preload_length 0
		.amdhsa_user_sgpr_kernarg_preload_offset 0
		.amdhsa_user_sgpr_private_segment_size 0
		.amdhsa_wavefront_size32 1
		.amdhsa_uses_dynamic_stack 0
		.amdhsa_enable_private_segment 0
		.amdhsa_system_sgpr_workgroup_id_x 1
		.amdhsa_system_sgpr_workgroup_id_y 0
		.amdhsa_system_sgpr_workgroup_id_z 0
		.amdhsa_system_sgpr_workgroup_info 0
		.amdhsa_system_vgpr_workitem_id 0
		.amdhsa_next_free_vgpr 8
		.amdhsa_next_free_sgpr 7
		.amdhsa_named_barrier_count 0
		.amdhsa_reserve_vcc 0
		.amdhsa_float_round_mode_32 0
		.amdhsa_float_round_mode_16_64 0
		.amdhsa_float_denorm_mode_32 3
		.amdhsa_float_denorm_mode_16_64 3
		.amdhsa_fp16_overflow 0
		.amdhsa_memory_ordered 1
		.amdhsa_forward_progress 1
		.amdhsa_inst_pref_size 33
		.amdhsa_round_robin_scheduling 0
		.amdhsa_exception_fp_ieee_invalid_op 0
		.amdhsa_exception_fp_denorm_src 0
		.amdhsa_exception_fp_ieee_div_zero 0
		.amdhsa_exception_fp_ieee_overflow 0
		.amdhsa_exception_fp_ieee_underflow 0
		.amdhsa_exception_fp_ieee_inexact 0
		.amdhsa_exception_int_div_zero 0
	.end_amdhsa_kernel
	.section	.text._Z17shuffle_up_kernelILj37ELj128EiEvPT1_S1_,"axG",@progbits,_Z17shuffle_up_kernelILj37ELj128EiEvPT1_S1_,comdat
.Lfunc_end45:
	.size	_Z17shuffle_up_kernelILj37ELj128EiEvPT1_S1_, .Lfunc_end45-_Z17shuffle_up_kernelILj37ELj128EiEvPT1_S1_
                                        ; -- End function
	.set _Z17shuffle_up_kernelILj37ELj128EiEvPT1_S1_.num_vgpr, 8
	.set _Z17shuffle_up_kernelILj37ELj128EiEvPT1_S1_.num_agpr, 0
	.set _Z17shuffle_up_kernelILj37ELj128EiEvPT1_S1_.numbered_sgpr, 7
	.set _Z17shuffle_up_kernelILj37ELj128EiEvPT1_S1_.num_named_barrier, 0
	.set _Z17shuffle_up_kernelILj37ELj128EiEvPT1_S1_.private_seg_size, 0
	.set _Z17shuffle_up_kernelILj37ELj128EiEvPT1_S1_.uses_vcc, 0
	.set _Z17shuffle_up_kernelILj37ELj128EiEvPT1_S1_.uses_flat_scratch, 0
	.set _Z17shuffle_up_kernelILj37ELj128EiEvPT1_S1_.has_dyn_sized_stack, 0
	.set _Z17shuffle_up_kernelILj37ELj128EiEvPT1_S1_.has_recursion, 0
	.set _Z17shuffle_up_kernelILj37ELj128EiEvPT1_S1_.has_indirect_call, 0
	.section	.AMDGPU.csdata,"",@progbits
; Kernel info:
; codeLenInByte = 4224
; TotalNumSgprs: 7
; NumVgprs: 8
; ScratchSize: 0
; MemoryBound: 1
; FloatMode: 240
; IeeeMode: 1
; LDSByteSize: 148 bytes/workgroup (compile time only)
; SGPRBlocks: 0
; VGPRBlocks: 0
; NumSGPRsForWavesPerEU: 7
; NumVGPRsForWavesPerEU: 8
; NamedBarCnt: 0
; Occupancy: 16
; WaveLimiterHint : 1
; COMPUTE_PGM_RSRC2:SCRATCH_EN: 0
; COMPUTE_PGM_RSRC2:USER_SGPR: 2
; COMPUTE_PGM_RSRC2:TRAP_HANDLER: 0
; COMPUTE_PGM_RSRC2:TGID_X_EN: 1
; COMPUTE_PGM_RSRC2:TGID_Y_EN: 0
; COMPUTE_PGM_RSRC2:TGID_Z_EN: 0
; COMPUTE_PGM_RSRC2:TIDIG_COMP_CNT: 0
	.section	.text._Z17shuffle_up_kernelILj65ELj128EiEvPT1_S1_,"axG",@progbits,_Z17shuffle_up_kernelILj65ELj128EiEvPT1_S1_,comdat
	.protected	_Z17shuffle_up_kernelILj65ELj128EiEvPT1_S1_ ; -- Begin function _Z17shuffle_up_kernelILj65ELj128EiEvPT1_S1_
	.globl	_Z17shuffle_up_kernelILj65ELj128EiEvPT1_S1_
	.p2align	8
	.type	_Z17shuffle_up_kernelILj65ELj128EiEvPT1_S1_,@function
_Z17shuffle_up_kernelILj65ELj128EiEvPT1_S1_: ; @_Z17shuffle_up_kernelILj65ELj128EiEvPT1_S1_
; %bb.0:
	s_bfe_u32 s4, ttmp6, 0x4000c
	s_and_b32 s5, ttmp6, 15
	s_add_co_i32 s4, s4, 1
	s_load_b128 s[0:3], s[0:1], 0x0
	s_mul_i32 s4, ttmp9, s4
	s_getreg_b32 s6, hwreg(HW_REG_IB_STS2, 6, 4)
	s_add_co_i32 s5, s5, s4
	s_cmp_eq_u32 s6, 0
	v_mov_b32_e32 v5, 0
	s_cselect_b32 s4, ttmp9, s5
	s_delay_alu instid0(SALU_CYCLE_1) | instskip(NEXT) | instid1(SALU_CYCLE_1)
	s_mulk_i32 s4, 0x41
	v_add_lshl_u32 v4, s4, v0, 7
	s_delay_alu instid0(VALU_DEP_1) | instskip(SKIP_1) | instid1(VALU_DEP_1)
	v_lshlrev_b64_e32 v[2:3], 2, v[4:5]
	s_wait_kmcnt 0x0
	v_add_nc_u64_e32 v[6:7], s[0:1], v[2:3]
	global_load_b64 v[6:7], v[6:7], off offset:504
	s_wait_loadcnt 0x0
	s_clause 0x1
	global_store_b32 v4, v6, s[2:3] offset:508 scale_offset
	global_load_b32 v1, v4, s[0:1] offset:500 scale_offset
	s_wait_loadcnt 0x0
	s_clause 0x1
	global_store_b32 v4, v1, s[2:3] offset:504 scale_offset
	global_load_b32 v1, v4, s[0:1] offset:496 scale_offset
	;; [unrolled: 4-line block ×125, first 2 shown]
	s_wait_loadcnt 0x0
	s_clause 0x1
	global_store_b32 v4, v1, s[2:3] offset:8 scale_offset
	global_load_b32 v5, v4, s[0:1] scale_offset
	s_wait_xcnt 0x1
	v_lshlrev_b32_e32 v1, 2, v0
	s_wait_xcnt 0x0
	s_mov_b32 s0, exec_lo
	ds_store_b32 v1, v7
	s_wait_loadcnt 0x0
	global_store_b32 v4, v5, s[2:3] offset:4 scale_offset
	s_wait_storecnt_dscnt 0x0
	s_barrier_signal -1
	s_barrier_wait -1
	s_wait_xcnt 0x0
	v_cmpx_ne_u32_e32 0, v0
	s_cbranch_execz .LBB46_2
; %bb.1:
	v_add_nc_u32_e32 v0, -4, v1
	ds_load_b32 v4, v0
	v_add_nc_u64_e32 v[0:1], s[2:3], v[2:3]
	s_wait_dscnt 0x0
	global_store_b32 v[0:1], v4, off
.LBB46_2:
	s_endpgm
	.section	.rodata,"a",@progbits
	.p2align	6, 0x0
	.amdhsa_kernel _Z17shuffle_up_kernelILj65ELj128EiEvPT1_S1_
		.amdhsa_group_segment_fixed_size 260
		.amdhsa_private_segment_fixed_size 0
		.amdhsa_kernarg_size 16
		.amdhsa_user_sgpr_count 2
		.amdhsa_user_sgpr_dispatch_ptr 0
		.amdhsa_user_sgpr_queue_ptr 0
		.amdhsa_user_sgpr_kernarg_segment_ptr 1
		.amdhsa_user_sgpr_dispatch_id 0
		.amdhsa_user_sgpr_kernarg_preload_length 0
		.amdhsa_user_sgpr_kernarg_preload_offset 0
		.amdhsa_user_sgpr_private_segment_size 0
		.amdhsa_wavefront_size32 1
		.amdhsa_uses_dynamic_stack 0
		.amdhsa_enable_private_segment 0
		.amdhsa_system_sgpr_workgroup_id_x 1
		.amdhsa_system_sgpr_workgroup_id_y 0
		.amdhsa_system_sgpr_workgroup_id_z 0
		.amdhsa_system_sgpr_workgroup_info 0
		.amdhsa_system_vgpr_workitem_id 0
		.amdhsa_next_free_vgpr 8
		.amdhsa_next_free_sgpr 7
		.amdhsa_named_barrier_count 0
		.amdhsa_reserve_vcc 0
		.amdhsa_float_round_mode_32 0
		.amdhsa_float_round_mode_16_64 0
		.amdhsa_float_denorm_mode_32 3
		.amdhsa_float_denorm_mode_16_64 3
		.amdhsa_fp16_overflow 0
		.amdhsa_memory_ordered 1
		.amdhsa_forward_progress 1
		.amdhsa_inst_pref_size 33
		.amdhsa_round_robin_scheduling 0
		.amdhsa_exception_fp_ieee_invalid_op 0
		.amdhsa_exception_fp_denorm_src 0
		.amdhsa_exception_fp_ieee_div_zero 0
		.amdhsa_exception_fp_ieee_overflow 0
		.amdhsa_exception_fp_ieee_underflow 0
		.amdhsa_exception_fp_ieee_inexact 0
		.amdhsa_exception_int_div_zero 0
	.end_amdhsa_kernel
	.section	.text._Z17shuffle_up_kernelILj65ELj128EiEvPT1_S1_,"axG",@progbits,_Z17shuffle_up_kernelILj65ELj128EiEvPT1_S1_,comdat
.Lfunc_end46:
	.size	_Z17shuffle_up_kernelILj65ELj128EiEvPT1_S1_, .Lfunc_end46-_Z17shuffle_up_kernelILj65ELj128EiEvPT1_S1_
                                        ; -- End function
	.set _Z17shuffle_up_kernelILj65ELj128EiEvPT1_S1_.num_vgpr, 8
	.set _Z17shuffle_up_kernelILj65ELj128EiEvPT1_S1_.num_agpr, 0
	.set _Z17shuffle_up_kernelILj65ELj128EiEvPT1_S1_.numbered_sgpr, 7
	.set _Z17shuffle_up_kernelILj65ELj128EiEvPT1_S1_.num_named_barrier, 0
	.set _Z17shuffle_up_kernelILj65ELj128EiEvPT1_S1_.private_seg_size, 0
	.set _Z17shuffle_up_kernelILj65ELj128EiEvPT1_S1_.uses_vcc, 0
	.set _Z17shuffle_up_kernelILj65ELj128EiEvPT1_S1_.uses_flat_scratch, 0
	.set _Z17shuffle_up_kernelILj65ELj128EiEvPT1_S1_.has_dyn_sized_stack, 0
	.set _Z17shuffle_up_kernelILj65ELj128EiEvPT1_S1_.has_recursion, 0
	.set _Z17shuffle_up_kernelILj65ELj128EiEvPT1_S1_.has_indirect_call, 0
	.section	.AMDGPU.csdata,"",@progbits
; Kernel info:
; codeLenInByte = 4224
; TotalNumSgprs: 7
; NumVgprs: 8
; ScratchSize: 0
; MemoryBound: 1
; FloatMode: 240
; IeeeMode: 1
; LDSByteSize: 260 bytes/workgroup (compile time only)
; SGPRBlocks: 0
; VGPRBlocks: 0
; NumSGPRsForWavesPerEU: 7
; NumVGPRsForWavesPerEU: 8
; NamedBarCnt: 0
; Occupancy: 16
; WaveLimiterHint : 1
; COMPUTE_PGM_RSRC2:SCRATCH_EN: 0
; COMPUTE_PGM_RSRC2:USER_SGPR: 2
; COMPUTE_PGM_RSRC2:TRAP_HANDLER: 0
; COMPUTE_PGM_RSRC2:TGID_X_EN: 1
; COMPUTE_PGM_RSRC2:TGID_Y_EN: 0
; COMPUTE_PGM_RSRC2:TGID_Z_EN: 0
; COMPUTE_PGM_RSRC2:TIDIG_COMP_CNT: 0
	.section	.text._Z17shuffle_up_kernelILj512ELj128EiEvPT1_S1_,"axG",@progbits,_Z17shuffle_up_kernelILj512ELj128EiEvPT1_S1_,comdat
	.protected	_Z17shuffle_up_kernelILj512ELj128EiEvPT1_S1_ ; -- Begin function _Z17shuffle_up_kernelILj512ELj128EiEvPT1_S1_
	.globl	_Z17shuffle_up_kernelILj512ELj128EiEvPT1_S1_
	.p2align	8
	.type	_Z17shuffle_up_kernelILj512ELj128EiEvPT1_S1_,@function
_Z17shuffle_up_kernelILj512ELj128EiEvPT1_S1_: ; @_Z17shuffle_up_kernelILj512ELj128EiEvPT1_S1_
; %bb.0:
	s_bfe_u32 s4, ttmp6, 0x4000c
	s_load_b128 s[0:3], s[0:1], 0x0
	s_add_co_i32 s4, s4, 1
	s_and_b32 s5, ttmp6, 15
	s_mul_i32 s4, ttmp9, s4
	s_getreg_b32 s6, hwreg(HW_REG_IB_STS2, 6, 4)
	v_dual_lshlrev_b32 v1, 7, v0 :: v_dual_mov_b32 v5, 0
	s_add_co_i32 s5, s5, s4
	s_cmp_eq_u32 s6, 0
	s_cselect_b32 s4, ttmp9, s5
	s_delay_alu instid0(VALU_DEP_1) | instid1(SALU_CYCLE_1)
	v_lshl_or_b32 v4, s4, 16, v1
	s_delay_alu instid0(VALU_DEP_1) | instskip(SKIP_1) | instid1(VALU_DEP_1)
	v_lshlrev_b64_e32 v[2:3], 2, v[4:5]
	s_wait_kmcnt 0x0
	v_add_nc_u64_e32 v[6:7], s[0:1], v[2:3]
	global_load_b64 v[6:7], v[6:7], off offset:504
	s_wait_loadcnt 0x0
	s_clause 0x1
	global_store_b32 v4, v6, s[2:3] offset:508 scale_offset
	global_load_b32 v1, v4, s[0:1] offset:500 scale_offset
	s_wait_loadcnt 0x0
	s_clause 0x1
	global_store_b32 v4, v1, s[2:3] offset:504 scale_offset
	global_load_b32 v1, v4, s[0:1] offset:496 scale_offset
	;; [unrolled: 4-line block ×125, first 2 shown]
	s_wait_loadcnt 0x0
	s_clause 0x1
	global_store_b32 v4, v1, s[2:3] offset:8 scale_offset
	global_load_b32 v5, v4, s[0:1] scale_offset
	s_wait_xcnt 0x1
	v_lshlrev_b32_e32 v1, 2, v0
	s_wait_xcnt 0x0
	s_mov_b32 s0, exec_lo
	ds_store_b32 v1, v7
	s_wait_loadcnt 0x0
	global_store_b32 v4, v5, s[2:3] offset:4 scale_offset
	s_wait_storecnt_dscnt 0x0
	s_barrier_signal -1
	s_barrier_wait -1
	s_wait_xcnt 0x0
	v_cmpx_ne_u32_e32 0, v0
	s_cbranch_execz .LBB47_2
; %bb.1:
	v_add_nc_u32_e32 v0, -4, v1
	ds_load_b32 v4, v0
	v_add_nc_u64_e32 v[0:1], s[2:3], v[2:3]
	s_wait_dscnt 0x0
	global_store_b32 v[0:1], v4, off
.LBB47_2:
	s_endpgm
	.section	.rodata,"a",@progbits
	.p2align	6, 0x0
	.amdhsa_kernel _Z17shuffle_up_kernelILj512ELj128EiEvPT1_S1_
		.amdhsa_group_segment_fixed_size 2048
		.amdhsa_private_segment_fixed_size 0
		.amdhsa_kernarg_size 16
		.amdhsa_user_sgpr_count 2
		.amdhsa_user_sgpr_dispatch_ptr 0
		.amdhsa_user_sgpr_queue_ptr 0
		.amdhsa_user_sgpr_kernarg_segment_ptr 1
		.amdhsa_user_sgpr_dispatch_id 0
		.amdhsa_user_sgpr_kernarg_preload_length 0
		.amdhsa_user_sgpr_kernarg_preload_offset 0
		.amdhsa_user_sgpr_private_segment_size 0
		.amdhsa_wavefront_size32 1
		.amdhsa_uses_dynamic_stack 0
		.amdhsa_enable_private_segment 0
		.amdhsa_system_sgpr_workgroup_id_x 1
		.amdhsa_system_sgpr_workgroup_id_y 0
		.amdhsa_system_sgpr_workgroup_id_z 0
		.amdhsa_system_sgpr_workgroup_info 0
		.amdhsa_system_vgpr_workitem_id 0
		.amdhsa_next_free_vgpr 8
		.amdhsa_next_free_sgpr 7
		.amdhsa_named_barrier_count 0
		.amdhsa_reserve_vcc 0
		.amdhsa_float_round_mode_32 0
		.amdhsa_float_round_mode_16_64 0
		.amdhsa_float_denorm_mode_32 3
		.amdhsa_float_denorm_mode_16_64 3
		.amdhsa_fp16_overflow 0
		.amdhsa_memory_ordered 1
		.amdhsa_forward_progress 1
		.amdhsa_inst_pref_size 34
		.amdhsa_round_robin_scheduling 0
		.amdhsa_exception_fp_ieee_invalid_op 0
		.amdhsa_exception_fp_denorm_src 0
		.amdhsa_exception_fp_ieee_div_zero 0
		.amdhsa_exception_fp_ieee_overflow 0
		.amdhsa_exception_fp_ieee_underflow 0
		.amdhsa_exception_fp_ieee_inexact 0
		.amdhsa_exception_int_div_zero 0
	.end_amdhsa_kernel
	.section	.text._Z17shuffle_up_kernelILj512ELj128EiEvPT1_S1_,"axG",@progbits,_Z17shuffle_up_kernelILj512ELj128EiEvPT1_S1_,comdat
.Lfunc_end47:
	.size	_Z17shuffle_up_kernelILj512ELj128EiEvPT1_S1_, .Lfunc_end47-_Z17shuffle_up_kernelILj512ELj128EiEvPT1_S1_
                                        ; -- End function
	.set _Z17shuffle_up_kernelILj512ELj128EiEvPT1_S1_.num_vgpr, 8
	.set _Z17shuffle_up_kernelILj512ELj128EiEvPT1_S1_.num_agpr, 0
	.set _Z17shuffle_up_kernelILj512ELj128EiEvPT1_S1_.numbered_sgpr, 7
	.set _Z17shuffle_up_kernelILj512ELj128EiEvPT1_S1_.num_named_barrier, 0
	.set _Z17shuffle_up_kernelILj512ELj128EiEvPT1_S1_.private_seg_size, 0
	.set _Z17shuffle_up_kernelILj512ELj128EiEvPT1_S1_.uses_vcc, 0
	.set _Z17shuffle_up_kernelILj512ELj128EiEvPT1_S1_.uses_flat_scratch, 0
	.set _Z17shuffle_up_kernelILj512ELj128EiEvPT1_S1_.has_dyn_sized_stack, 0
	.set _Z17shuffle_up_kernelILj512ELj128EiEvPT1_S1_.has_recursion, 0
	.set _Z17shuffle_up_kernelILj512ELj128EiEvPT1_S1_.has_indirect_call, 0
	.section	.AMDGPU.csdata,"",@progbits
; Kernel info:
; codeLenInByte = 4228
; TotalNumSgprs: 7
; NumVgprs: 8
; ScratchSize: 0
; MemoryBound: 1
; FloatMode: 240
; IeeeMode: 1
; LDSByteSize: 2048 bytes/workgroup (compile time only)
; SGPRBlocks: 0
; VGPRBlocks: 0
; NumSGPRsForWavesPerEU: 7
; NumVGPRsForWavesPerEU: 8
; NamedBarCnt: 0
; Occupancy: 16
; WaveLimiterHint : 1
; COMPUTE_PGM_RSRC2:SCRATCH_EN: 0
; COMPUTE_PGM_RSRC2:USER_SGPR: 2
; COMPUTE_PGM_RSRC2:TRAP_HANDLER: 0
; COMPUTE_PGM_RSRC2:TGID_X_EN: 1
; COMPUTE_PGM_RSRC2:TGID_Y_EN: 0
; COMPUTE_PGM_RSRC2:TGID_Z_EN: 0
; COMPUTE_PGM_RSRC2:TIDIG_COMP_CNT: 0
	.section	.text._Z17shuffle_up_kernelILj256ELj128EiEvPT1_S1_,"axG",@progbits,_Z17shuffle_up_kernelILj256ELj128EiEvPT1_S1_,comdat
	.protected	_Z17shuffle_up_kernelILj256ELj128EiEvPT1_S1_ ; -- Begin function _Z17shuffle_up_kernelILj256ELj128EiEvPT1_S1_
	.globl	_Z17shuffle_up_kernelILj256ELj128EiEvPT1_S1_
	.p2align	8
	.type	_Z17shuffle_up_kernelILj256ELj128EiEvPT1_S1_,@function
_Z17shuffle_up_kernelILj256ELj128EiEvPT1_S1_: ; @_Z17shuffle_up_kernelILj256ELj128EiEvPT1_S1_
; %bb.0:
	s_bfe_u32 s4, ttmp6, 0x4000c
	s_load_b128 s[0:3], s[0:1], 0x0
	s_add_co_i32 s4, s4, 1
	s_and_b32 s5, ttmp6, 15
	s_mul_i32 s4, ttmp9, s4
	s_getreg_b32 s6, hwreg(HW_REG_IB_STS2, 6, 4)
	v_dual_lshlrev_b32 v1, 7, v0 :: v_dual_mov_b32 v5, 0
	s_add_co_i32 s5, s5, s4
	s_cmp_eq_u32 s6, 0
	s_cselect_b32 s4, ttmp9, s5
	s_delay_alu instid0(VALU_DEP_1) | instid1(SALU_CYCLE_1)
	v_lshl_or_b32 v4, s4, 15, v1
	s_delay_alu instid0(VALU_DEP_1) | instskip(SKIP_1) | instid1(VALU_DEP_1)
	v_lshlrev_b64_e32 v[2:3], 2, v[4:5]
	s_wait_kmcnt 0x0
	v_add_nc_u64_e32 v[6:7], s[0:1], v[2:3]
	global_load_b64 v[6:7], v[6:7], off offset:504
	s_wait_loadcnt 0x0
	s_clause 0x1
	global_store_b32 v4, v6, s[2:3] offset:508 scale_offset
	global_load_b32 v1, v4, s[0:1] offset:500 scale_offset
	s_wait_loadcnt 0x0
	s_clause 0x1
	global_store_b32 v4, v1, s[2:3] offset:504 scale_offset
	global_load_b32 v1, v4, s[0:1] offset:496 scale_offset
	;; [unrolled: 4-line block ×125, first 2 shown]
	s_wait_loadcnt 0x0
	s_clause 0x1
	global_store_b32 v4, v1, s[2:3] offset:8 scale_offset
	global_load_b32 v5, v4, s[0:1] scale_offset
	s_wait_xcnt 0x1
	v_lshlrev_b32_e32 v1, 2, v0
	s_wait_xcnt 0x0
	s_mov_b32 s0, exec_lo
	ds_store_b32 v1, v7
	s_wait_loadcnt 0x0
	global_store_b32 v4, v5, s[2:3] offset:4 scale_offset
	s_wait_storecnt_dscnt 0x0
	s_barrier_signal -1
	s_barrier_wait -1
	s_wait_xcnt 0x0
	v_cmpx_ne_u32_e32 0, v0
	s_cbranch_execz .LBB48_2
; %bb.1:
	v_add_nc_u32_e32 v0, -4, v1
	ds_load_b32 v4, v0
	v_add_nc_u64_e32 v[0:1], s[2:3], v[2:3]
	s_wait_dscnt 0x0
	global_store_b32 v[0:1], v4, off
.LBB48_2:
	s_endpgm
	.section	.rodata,"a",@progbits
	.p2align	6, 0x0
	.amdhsa_kernel _Z17shuffle_up_kernelILj256ELj128EiEvPT1_S1_
		.amdhsa_group_segment_fixed_size 1024
		.amdhsa_private_segment_fixed_size 0
		.amdhsa_kernarg_size 16
		.amdhsa_user_sgpr_count 2
		.amdhsa_user_sgpr_dispatch_ptr 0
		.amdhsa_user_sgpr_queue_ptr 0
		.amdhsa_user_sgpr_kernarg_segment_ptr 1
		.amdhsa_user_sgpr_dispatch_id 0
		.amdhsa_user_sgpr_kernarg_preload_length 0
		.amdhsa_user_sgpr_kernarg_preload_offset 0
		.amdhsa_user_sgpr_private_segment_size 0
		.amdhsa_wavefront_size32 1
		.amdhsa_uses_dynamic_stack 0
		.amdhsa_enable_private_segment 0
		.amdhsa_system_sgpr_workgroup_id_x 1
		.amdhsa_system_sgpr_workgroup_id_y 0
		.amdhsa_system_sgpr_workgroup_id_z 0
		.amdhsa_system_sgpr_workgroup_info 0
		.amdhsa_system_vgpr_workitem_id 0
		.amdhsa_next_free_vgpr 8
		.amdhsa_next_free_sgpr 7
		.amdhsa_named_barrier_count 0
		.amdhsa_reserve_vcc 0
		.amdhsa_float_round_mode_32 0
		.amdhsa_float_round_mode_16_64 0
		.amdhsa_float_denorm_mode_32 3
		.amdhsa_float_denorm_mode_16_64 3
		.amdhsa_fp16_overflow 0
		.amdhsa_memory_ordered 1
		.amdhsa_forward_progress 1
		.amdhsa_inst_pref_size 34
		.amdhsa_round_robin_scheduling 0
		.amdhsa_exception_fp_ieee_invalid_op 0
		.amdhsa_exception_fp_denorm_src 0
		.amdhsa_exception_fp_ieee_div_zero 0
		.amdhsa_exception_fp_ieee_overflow 0
		.amdhsa_exception_fp_ieee_underflow 0
		.amdhsa_exception_fp_ieee_inexact 0
		.amdhsa_exception_int_div_zero 0
	.end_amdhsa_kernel
	.section	.text._Z17shuffle_up_kernelILj256ELj128EiEvPT1_S1_,"axG",@progbits,_Z17shuffle_up_kernelILj256ELj128EiEvPT1_S1_,comdat
.Lfunc_end48:
	.size	_Z17shuffle_up_kernelILj256ELj128EiEvPT1_S1_, .Lfunc_end48-_Z17shuffle_up_kernelILj256ELj128EiEvPT1_S1_
                                        ; -- End function
	.set _Z17shuffle_up_kernelILj256ELj128EiEvPT1_S1_.num_vgpr, 8
	.set _Z17shuffle_up_kernelILj256ELj128EiEvPT1_S1_.num_agpr, 0
	.set _Z17shuffle_up_kernelILj256ELj128EiEvPT1_S1_.numbered_sgpr, 7
	.set _Z17shuffle_up_kernelILj256ELj128EiEvPT1_S1_.num_named_barrier, 0
	.set _Z17shuffle_up_kernelILj256ELj128EiEvPT1_S1_.private_seg_size, 0
	.set _Z17shuffle_up_kernelILj256ELj128EiEvPT1_S1_.uses_vcc, 0
	.set _Z17shuffle_up_kernelILj256ELj128EiEvPT1_S1_.uses_flat_scratch, 0
	.set _Z17shuffle_up_kernelILj256ELj128EiEvPT1_S1_.has_dyn_sized_stack, 0
	.set _Z17shuffle_up_kernelILj256ELj128EiEvPT1_S1_.has_recursion, 0
	.set _Z17shuffle_up_kernelILj256ELj128EiEvPT1_S1_.has_indirect_call, 0
	.section	.AMDGPU.csdata,"",@progbits
; Kernel info:
; codeLenInByte = 4228
; TotalNumSgprs: 7
; NumVgprs: 8
; ScratchSize: 0
; MemoryBound: 1
; FloatMode: 240
; IeeeMode: 1
; LDSByteSize: 1024 bytes/workgroup (compile time only)
; SGPRBlocks: 0
; VGPRBlocks: 0
; NumSGPRsForWavesPerEU: 7
; NumVGPRsForWavesPerEU: 8
; NamedBarCnt: 0
; Occupancy: 16
; WaveLimiterHint : 1
; COMPUTE_PGM_RSRC2:SCRATCH_EN: 0
; COMPUTE_PGM_RSRC2:USER_SGPR: 2
; COMPUTE_PGM_RSRC2:TRAP_HANDLER: 0
; COMPUTE_PGM_RSRC2:TGID_X_EN: 1
; COMPUTE_PGM_RSRC2:TGID_Y_EN: 0
; COMPUTE_PGM_RSRC2:TGID_Z_EN: 0
; COMPUTE_PGM_RSRC2:TIDIG_COMP_CNT: 0
	.section	.text._Z17shuffle_up_kernelILj128ELj128EiEvPT1_S1_,"axG",@progbits,_Z17shuffle_up_kernelILj128ELj128EiEvPT1_S1_,comdat
	.protected	_Z17shuffle_up_kernelILj128ELj128EiEvPT1_S1_ ; -- Begin function _Z17shuffle_up_kernelILj128ELj128EiEvPT1_S1_
	.globl	_Z17shuffle_up_kernelILj128ELj128EiEvPT1_S1_
	.p2align	8
	.type	_Z17shuffle_up_kernelILj128ELj128EiEvPT1_S1_,@function
_Z17shuffle_up_kernelILj128ELj128EiEvPT1_S1_: ; @_Z17shuffle_up_kernelILj128ELj128EiEvPT1_S1_
; %bb.0:
	s_bfe_u32 s4, ttmp6, 0x4000c
	s_load_b128 s[0:3], s[0:1], 0x0
	s_add_co_i32 s4, s4, 1
	s_and_b32 s5, ttmp6, 15
	s_mul_i32 s4, ttmp9, s4
	s_getreg_b32 s6, hwreg(HW_REG_IB_STS2, 6, 4)
	v_dual_lshlrev_b32 v1, 7, v0 :: v_dual_mov_b32 v5, 0
	s_add_co_i32 s5, s5, s4
	s_cmp_eq_u32 s6, 0
	s_cselect_b32 s4, ttmp9, s5
	s_delay_alu instid0(VALU_DEP_1) | instid1(SALU_CYCLE_1)
	v_lshl_or_b32 v4, s4, 14, v1
	s_delay_alu instid0(VALU_DEP_1) | instskip(SKIP_1) | instid1(VALU_DEP_1)
	v_lshlrev_b64_e32 v[2:3], 2, v[4:5]
	s_wait_kmcnt 0x0
	v_add_nc_u64_e32 v[6:7], s[0:1], v[2:3]
	global_load_b64 v[6:7], v[6:7], off offset:504
	s_wait_loadcnt 0x0
	s_clause 0x1
	global_store_b32 v4, v6, s[2:3] offset:508 scale_offset
	global_load_b32 v1, v4, s[0:1] offset:500 scale_offset
	s_wait_loadcnt 0x0
	s_clause 0x1
	global_store_b32 v4, v1, s[2:3] offset:504 scale_offset
	global_load_b32 v1, v4, s[0:1] offset:496 scale_offset
	s_wait_loadcnt 0x0
	s_clause 0x1
	global_store_b32 v4, v1, s[2:3] offset:500 scale_offset
	global_load_b32 v1, v4, s[0:1] offset:492 scale_offset
	s_wait_loadcnt 0x0
	s_clause 0x1
	global_store_b32 v4, v1, s[2:3] offset:496 scale_offset
	global_load_b32 v1, v4, s[0:1] offset:488 scale_offset
	s_wait_loadcnt 0x0
	s_clause 0x1
	global_store_b32 v4, v1, s[2:3] offset:492 scale_offset
	global_load_b32 v1, v4, s[0:1] offset:484 scale_offset
	s_wait_loadcnt 0x0
	s_clause 0x1
	global_store_b32 v4, v1, s[2:3] offset:488 scale_offset
	global_load_b32 v1, v4, s[0:1] offset:480 scale_offset
	s_wait_loadcnt 0x0
	s_clause 0x1
	global_store_b32 v4, v1, s[2:3] offset:484 scale_offset
	global_load_b32 v1, v4, s[0:1] offset:476 scale_offset
	s_wait_loadcnt 0x0
	s_clause 0x1
	global_store_b32 v4, v1, s[2:3] offset:480 scale_offset
	global_load_b32 v1, v4, s[0:1] offset:472 scale_offset
	s_wait_loadcnt 0x0
	s_clause 0x1
	global_store_b32 v4, v1, s[2:3] offset:476 scale_offset
	global_load_b32 v1, v4, s[0:1] offset:468 scale_offset
	s_wait_loadcnt 0x0
	s_clause 0x1
	global_store_b32 v4, v1, s[2:3] offset:472 scale_offset
	global_load_b32 v1, v4, s[0:1] offset:464 scale_offset
	s_wait_loadcnt 0x0
	s_clause 0x1
	global_store_b32 v4, v1, s[2:3] offset:468 scale_offset
	global_load_b32 v1, v4, s[0:1] offset:460 scale_offset
	s_wait_loadcnt 0x0
	s_clause 0x1
	global_store_b32 v4, v1, s[2:3] offset:464 scale_offset
	global_load_b32 v1, v4, s[0:1] offset:456 scale_offset
	s_wait_loadcnt 0x0
	s_clause 0x1
	global_store_b32 v4, v1, s[2:3] offset:460 scale_offset
	global_load_b32 v1, v4, s[0:1] offset:452 scale_offset
	s_wait_loadcnt 0x0
	s_clause 0x1
	global_store_b32 v4, v1, s[2:3] offset:456 scale_offset
	global_load_b32 v1, v4, s[0:1] offset:448 scale_offset
	s_wait_loadcnt 0x0
	s_clause 0x1
	global_store_b32 v4, v1, s[2:3] offset:452 scale_offset
	global_load_b32 v1, v4, s[0:1] offset:444 scale_offset
	s_wait_loadcnt 0x0
	s_clause 0x1
	global_store_b32 v4, v1, s[2:3] offset:448 scale_offset
	global_load_b32 v1, v4, s[0:1] offset:440 scale_offset
	s_wait_loadcnt 0x0
	s_clause 0x1
	global_store_b32 v4, v1, s[2:3] offset:444 scale_offset
	global_load_b32 v1, v4, s[0:1] offset:436 scale_offset
	s_wait_loadcnt 0x0
	s_clause 0x1
	global_store_b32 v4, v1, s[2:3] offset:440 scale_offset
	global_load_b32 v1, v4, s[0:1] offset:432 scale_offset
	s_wait_loadcnt 0x0
	s_clause 0x1
	global_store_b32 v4, v1, s[2:3] offset:436 scale_offset
	global_load_b32 v1, v4, s[0:1] offset:428 scale_offset
	s_wait_loadcnt 0x0
	s_clause 0x1
	global_store_b32 v4, v1, s[2:3] offset:432 scale_offset
	global_load_b32 v1, v4, s[0:1] offset:424 scale_offset
	s_wait_loadcnt 0x0
	s_clause 0x1
	global_store_b32 v4, v1, s[2:3] offset:428 scale_offset
	global_load_b32 v1, v4, s[0:1] offset:420 scale_offset
	s_wait_loadcnt 0x0
	s_clause 0x1
	global_store_b32 v4, v1, s[2:3] offset:424 scale_offset
	global_load_b32 v1, v4, s[0:1] offset:416 scale_offset
	s_wait_loadcnt 0x0
	s_clause 0x1
	global_store_b32 v4, v1, s[2:3] offset:420 scale_offset
	global_load_b32 v1, v4, s[0:1] offset:412 scale_offset
	s_wait_loadcnt 0x0
	s_clause 0x1
	global_store_b32 v4, v1, s[2:3] offset:416 scale_offset
	global_load_b32 v1, v4, s[0:1] offset:408 scale_offset
	s_wait_loadcnt 0x0
	s_clause 0x1
	global_store_b32 v4, v1, s[2:3] offset:412 scale_offset
	global_load_b32 v1, v4, s[0:1] offset:404 scale_offset
	s_wait_loadcnt 0x0
	s_clause 0x1
	global_store_b32 v4, v1, s[2:3] offset:408 scale_offset
	global_load_b32 v1, v4, s[0:1] offset:400 scale_offset
	s_wait_loadcnt 0x0
	s_clause 0x1
	global_store_b32 v4, v1, s[2:3] offset:404 scale_offset
	global_load_b32 v1, v4, s[0:1] offset:396 scale_offset
	s_wait_loadcnt 0x0
	s_clause 0x1
	global_store_b32 v4, v1, s[2:3] offset:400 scale_offset
	global_load_b32 v1, v4, s[0:1] offset:392 scale_offset
	s_wait_loadcnt 0x0
	s_clause 0x1
	global_store_b32 v4, v1, s[2:3] offset:396 scale_offset
	global_load_b32 v1, v4, s[0:1] offset:388 scale_offset
	s_wait_loadcnt 0x0
	s_clause 0x1
	global_store_b32 v4, v1, s[2:3] offset:392 scale_offset
	global_load_b32 v1, v4, s[0:1] offset:384 scale_offset
	s_wait_loadcnt 0x0
	s_clause 0x1
	global_store_b32 v4, v1, s[2:3] offset:388 scale_offset
	global_load_b32 v1, v4, s[0:1] offset:380 scale_offset
	s_wait_loadcnt 0x0
	s_clause 0x1
	global_store_b32 v4, v1, s[2:3] offset:384 scale_offset
	global_load_b32 v1, v4, s[0:1] offset:376 scale_offset
	s_wait_loadcnt 0x0
	s_clause 0x1
	global_store_b32 v4, v1, s[2:3] offset:380 scale_offset
	global_load_b32 v1, v4, s[0:1] offset:372 scale_offset
	s_wait_loadcnt 0x0
	s_clause 0x1
	global_store_b32 v4, v1, s[2:3] offset:376 scale_offset
	global_load_b32 v1, v4, s[0:1] offset:368 scale_offset
	s_wait_loadcnt 0x0
	s_clause 0x1
	global_store_b32 v4, v1, s[2:3] offset:372 scale_offset
	global_load_b32 v1, v4, s[0:1] offset:364 scale_offset
	s_wait_loadcnt 0x0
	s_clause 0x1
	global_store_b32 v4, v1, s[2:3] offset:368 scale_offset
	global_load_b32 v1, v4, s[0:1] offset:360 scale_offset
	s_wait_loadcnt 0x0
	s_clause 0x1
	global_store_b32 v4, v1, s[2:3] offset:364 scale_offset
	global_load_b32 v1, v4, s[0:1] offset:356 scale_offset
	s_wait_loadcnt 0x0
	s_clause 0x1
	global_store_b32 v4, v1, s[2:3] offset:360 scale_offset
	global_load_b32 v1, v4, s[0:1] offset:352 scale_offset
	s_wait_loadcnt 0x0
	s_clause 0x1
	global_store_b32 v4, v1, s[2:3] offset:356 scale_offset
	global_load_b32 v1, v4, s[0:1] offset:348 scale_offset
	s_wait_loadcnt 0x0
	s_clause 0x1
	global_store_b32 v4, v1, s[2:3] offset:352 scale_offset
	global_load_b32 v1, v4, s[0:1] offset:344 scale_offset
	s_wait_loadcnt 0x0
	s_clause 0x1
	global_store_b32 v4, v1, s[2:3] offset:348 scale_offset
	global_load_b32 v1, v4, s[0:1] offset:340 scale_offset
	s_wait_loadcnt 0x0
	s_clause 0x1
	global_store_b32 v4, v1, s[2:3] offset:344 scale_offset
	global_load_b32 v1, v4, s[0:1] offset:336 scale_offset
	s_wait_loadcnt 0x0
	s_clause 0x1
	global_store_b32 v4, v1, s[2:3] offset:340 scale_offset
	global_load_b32 v1, v4, s[0:1] offset:332 scale_offset
	s_wait_loadcnt 0x0
	s_clause 0x1
	global_store_b32 v4, v1, s[2:3] offset:336 scale_offset
	global_load_b32 v1, v4, s[0:1] offset:328 scale_offset
	s_wait_loadcnt 0x0
	s_clause 0x1
	global_store_b32 v4, v1, s[2:3] offset:332 scale_offset
	global_load_b32 v1, v4, s[0:1] offset:324 scale_offset
	s_wait_loadcnt 0x0
	s_clause 0x1
	global_store_b32 v4, v1, s[2:3] offset:328 scale_offset
	global_load_b32 v1, v4, s[0:1] offset:320 scale_offset
	s_wait_loadcnt 0x0
	s_clause 0x1
	global_store_b32 v4, v1, s[2:3] offset:324 scale_offset
	global_load_b32 v1, v4, s[0:1] offset:316 scale_offset
	s_wait_loadcnt 0x0
	s_clause 0x1
	global_store_b32 v4, v1, s[2:3] offset:320 scale_offset
	global_load_b32 v1, v4, s[0:1] offset:312 scale_offset
	s_wait_loadcnt 0x0
	s_clause 0x1
	global_store_b32 v4, v1, s[2:3] offset:316 scale_offset
	global_load_b32 v1, v4, s[0:1] offset:308 scale_offset
	s_wait_loadcnt 0x0
	s_clause 0x1
	global_store_b32 v4, v1, s[2:3] offset:312 scale_offset
	global_load_b32 v1, v4, s[0:1] offset:304 scale_offset
	s_wait_loadcnt 0x0
	s_clause 0x1
	global_store_b32 v4, v1, s[2:3] offset:308 scale_offset
	global_load_b32 v1, v4, s[0:1] offset:300 scale_offset
	s_wait_loadcnt 0x0
	s_clause 0x1
	global_store_b32 v4, v1, s[2:3] offset:304 scale_offset
	global_load_b32 v1, v4, s[0:1] offset:296 scale_offset
	s_wait_loadcnt 0x0
	s_clause 0x1
	global_store_b32 v4, v1, s[2:3] offset:300 scale_offset
	global_load_b32 v1, v4, s[0:1] offset:292 scale_offset
	s_wait_loadcnt 0x0
	s_clause 0x1
	global_store_b32 v4, v1, s[2:3] offset:296 scale_offset
	global_load_b32 v1, v4, s[0:1] offset:288 scale_offset
	s_wait_loadcnt 0x0
	s_clause 0x1
	global_store_b32 v4, v1, s[2:3] offset:292 scale_offset
	global_load_b32 v1, v4, s[0:1] offset:284 scale_offset
	s_wait_loadcnt 0x0
	s_clause 0x1
	global_store_b32 v4, v1, s[2:3] offset:288 scale_offset
	global_load_b32 v1, v4, s[0:1] offset:280 scale_offset
	s_wait_loadcnt 0x0
	s_clause 0x1
	global_store_b32 v4, v1, s[2:3] offset:284 scale_offset
	global_load_b32 v1, v4, s[0:1] offset:276 scale_offset
	s_wait_loadcnt 0x0
	s_clause 0x1
	global_store_b32 v4, v1, s[2:3] offset:280 scale_offset
	global_load_b32 v1, v4, s[0:1] offset:272 scale_offset
	s_wait_loadcnt 0x0
	s_clause 0x1
	global_store_b32 v4, v1, s[2:3] offset:276 scale_offset
	global_load_b32 v1, v4, s[0:1] offset:268 scale_offset
	s_wait_loadcnt 0x0
	s_clause 0x1
	global_store_b32 v4, v1, s[2:3] offset:272 scale_offset
	global_load_b32 v1, v4, s[0:1] offset:264 scale_offset
	s_wait_loadcnt 0x0
	s_clause 0x1
	global_store_b32 v4, v1, s[2:3] offset:268 scale_offset
	global_load_b32 v1, v4, s[0:1] offset:260 scale_offset
	s_wait_loadcnt 0x0
	s_clause 0x1
	global_store_b32 v4, v1, s[2:3] offset:264 scale_offset
	global_load_b32 v1, v4, s[0:1] offset:256 scale_offset
	s_wait_loadcnt 0x0
	s_clause 0x1
	global_store_b32 v4, v1, s[2:3] offset:260 scale_offset
	global_load_b32 v1, v4, s[0:1] offset:252 scale_offset
	s_wait_loadcnt 0x0
	s_clause 0x1
	global_store_b32 v4, v1, s[2:3] offset:256 scale_offset
	global_load_b32 v1, v4, s[0:1] offset:248 scale_offset
	s_wait_loadcnt 0x0
	s_clause 0x1
	global_store_b32 v4, v1, s[2:3] offset:252 scale_offset
	global_load_b32 v1, v4, s[0:1] offset:244 scale_offset
	s_wait_loadcnt 0x0
	s_clause 0x1
	global_store_b32 v4, v1, s[2:3] offset:248 scale_offset
	global_load_b32 v1, v4, s[0:1] offset:240 scale_offset
	s_wait_loadcnt 0x0
	s_clause 0x1
	global_store_b32 v4, v1, s[2:3] offset:244 scale_offset
	global_load_b32 v1, v4, s[0:1] offset:236 scale_offset
	s_wait_loadcnt 0x0
	s_clause 0x1
	global_store_b32 v4, v1, s[2:3] offset:240 scale_offset
	global_load_b32 v1, v4, s[0:1] offset:232 scale_offset
	s_wait_loadcnt 0x0
	s_clause 0x1
	global_store_b32 v4, v1, s[2:3] offset:236 scale_offset
	global_load_b32 v1, v4, s[0:1] offset:228 scale_offset
	s_wait_loadcnt 0x0
	s_clause 0x1
	global_store_b32 v4, v1, s[2:3] offset:232 scale_offset
	global_load_b32 v1, v4, s[0:1] offset:224 scale_offset
	s_wait_loadcnt 0x0
	s_clause 0x1
	global_store_b32 v4, v1, s[2:3] offset:228 scale_offset
	global_load_b32 v1, v4, s[0:1] offset:220 scale_offset
	s_wait_loadcnt 0x0
	s_clause 0x1
	global_store_b32 v4, v1, s[2:3] offset:224 scale_offset
	global_load_b32 v1, v4, s[0:1] offset:216 scale_offset
	s_wait_loadcnt 0x0
	s_clause 0x1
	global_store_b32 v4, v1, s[2:3] offset:220 scale_offset
	global_load_b32 v1, v4, s[0:1] offset:212 scale_offset
	s_wait_loadcnt 0x0
	s_clause 0x1
	global_store_b32 v4, v1, s[2:3] offset:216 scale_offset
	global_load_b32 v1, v4, s[0:1] offset:208 scale_offset
	s_wait_loadcnt 0x0
	s_clause 0x1
	global_store_b32 v4, v1, s[2:3] offset:212 scale_offset
	global_load_b32 v1, v4, s[0:1] offset:204 scale_offset
	s_wait_loadcnt 0x0
	s_clause 0x1
	global_store_b32 v4, v1, s[2:3] offset:208 scale_offset
	global_load_b32 v1, v4, s[0:1] offset:200 scale_offset
	s_wait_loadcnt 0x0
	s_clause 0x1
	global_store_b32 v4, v1, s[2:3] offset:204 scale_offset
	global_load_b32 v1, v4, s[0:1] offset:196 scale_offset
	s_wait_loadcnt 0x0
	s_clause 0x1
	global_store_b32 v4, v1, s[2:3] offset:200 scale_offset
	global_load_b32 v1, v4, s[0:1] offset:192 scale_offset
	s_wait_loadcnt 0x0
	s_clause 0x1
	global_store_b32 v4, v1, s[2:3] offset:196 scale_offset
	global_load_b32 v1, v4, s[0:1] offset:188 scale_offset
	s_wait_loadcnt 0x0
	s_clause 0x1
	global_store_b32 v4, v1, s[2:3] offset:192 scale_offset
	global_load_b32 v1, v4, s[0:1] offset:184 scale_offset
	s_wait_loadcnt 0x0
	s_clause 0x1
	global_store_b32 v4, v1, s[2:3] offset:188 scale_offset
	global_load_b32 v1, v4, s[0:1] offset:180 scale_offset
	s_wait_loadcnt 0x0
	s_clause 0x1
	global_store_b32 v4, v1, s[2:3] offset:184 scale_offset
	global_load_b32 v1, v4, s[0:1] offset:176 scale_offset
	s_wait_loadcnt 0x0
	s_clause 0x1
	global_store_b32 v4, v1, s[2:3] offset:180 scale_offset
	global_load_b32 v1, v4, s[0:1] offset:172 scale_offset
	s_wait_loadcnt 0x0
	s_clause 0x1
	global_store_b32 v4, v1, s[2:3] offset:176 scale_offset
	global_load_b32 v1, v4, s[0:1] offset:168 scale_offset
	s_wait_loadcnt 0x0
	s_clause 0x1
	global_store_b32 v4, v1, s[2:3] offset:172 scale_offset
	global_load_b32 v1, v4, s[0:1] offset:164 scale_offset
	s_wait_loadcnt 0x0
	s_clause 0x1
	global_store_b32 v4, v1, s[2:3] offset:168 scale_offset
	global_load_b32 v1, v4, s[0:1] offset:160 scale_offset
	s_wait_loadcnt 0x0
	s_clause 0x1
	global_store_b32 v4, v1, s[2:3] offset:164 scale_offset
	global_load_b32 v1, v4, s[0:1] offset:156 scale_offset
	s_wait_loadcnt 0x0
	s_clause 0x1
	global_store_b32 v4, v1, s[2:3] offset:160 scale_offset
	global_load_b32 v1, v4, s[0:1] offset:152 scale_offset
	s_wait_loadcnt 0x0
	s_clause 0x1
	global_store_b32 v4, v1, s[2:3] offset:156 scale_offset
	global_load_b32 v1, v4, s[0:1] offset:148 scale_offset
	s_wait_loadcnt 0x0
	s_clause 0x1
	global_store_b32 v4, v1, s[2:3] offset:152 scale_offset
	global_load_b32 v1, v4, s[0:1] offset:144 scale_offset
	s_wait_loadcnt 0x0
	s_clause 0x1
	global_store_b32 v4, v1, s[2:3] offset:148 scale_offset
	global_load_b32 v1, v4, s[0:1] offset:140 scale_offset
	s_wait_loadcnt 0x0
	s_clause 0x1
	global_store_b32 v4, v1, s[2:3] offset:144 scale_offset
	global_load_b32 v1, v4, s[0:1] offset:136 scale_offset
	s_wait_loadcnt 0x0
	s_clause 0x1
	global_store_b32 v4, v1, s[2:3] offset:140 scale_offset
	global_load_b32 v1, v4, s[0:1] offset:132 scale_offset
	s_wait_loadcnt 0x0
	s_clause 0x1
	global_store_b32 v4, v1, s[2:3] offset:136 scale_offset
	global_load_b32 v1, v4, s[0:1] offset:128 scale_offset
	s_wait_loadcnt 0x0
	s_clause 0x1
	global_store_b32 v4, v1, s[2:3] offset:132 scale_offset
	global_load_b32 v1, v4, s[0:1] offset:124 scale_offset
	s_wait_loadcnt 0x0
	s_clause 0x1
	global_store_b32 v4, v1, s[2:3] offset:128 scale_offset
	global_load_b32 v1, v4, s[0:1] offset:120 scale_offset
	s_wait_loadcnt 0x0
	s_clause 0x1
	global_store_b32 v4, v1, s[2:3] offset:124 scale_offset
	global_load_b32 v1, v4, s[0:1] offset:116 scale_offset
	s_wait_loadcnt 0x0
	s_clause 0x1
	global_store_b32 v4, v1, s[2:3] offset:120 scale_offset
	global_load_b32 v1, v4, s[0:1] offset:112 scale_offset
	s_wait_loadcnt 0x0
	s_clause 0x1
	global_store_b32 v4, v1, s[2:3] offset:116 scale_offset
	global_load_b32 v1, v4, s[0:1] offset:108 scale_offset
	s_wait_loadcnt 0x0
	s_clause 0x1
	global_store_b32 v4, v1, s[2:3] offset:112 scale_offset
	global_load_b32 v1, v4, s[0:1] offset:104 scale_offset
	s_wait_loadcnt 0x0
	s_clause 0x1
	global_store_b32 v4, v1, s[2:3] offset:108 scale_offset
	global_load_b32 v1, v4, s[0:1] offset:100 scale_offset
	s_wait_loadcnt 0x0
	s_clause 0x1
	global_store_b32 v4, v1, s[2:3] offset:104 scale_offset
	global_load_b32 v1, v4, s[0:1] offset:96 scale_offset
	s_wait_loadcnt 0x0
	s_clause 0x1
	global_store_b32 v4, v1, s[2:3] offset:100 scale_offset
	global_load_b32 v1, v4, s[0:1] offset:92 scale_offset
	s_wait_loadcnt 0x0
	s_clause 0x1
	global_store_b32 v4, v1, s[2:3] offset:96 scale_offset
	global_load_b32 v1, v4, s[0:1] offset:88 scale_offset
	s_wait_loadcnt 0x0
	s_clause 0x1
	global_store_b32 v4, v1, s[2:3] offset:92 scale_offset
	global_load_b32 v1, v4, s[0:1] offset:84 scale_offset
	s_wait_loadcnt 0x0
	s_clause 0x1
	global_store_b32 v4, v1, s[2:3] offset:88 scale_offset
	global_load_b32 v1, v4, s[0:1] offset:80 scale_offset
	s_wait_loadcnt 0x0
	s_clause 0x1
	global_store_b32 v4, v1, s[2:3] offset:84 scale_offset
	global_load_b32 v1, v4, s[0:1] offset:76 scale_offset
	s_wait_loadcnt 0x0
	s_clause 0x1
	global_store_b32 v4, v1, s[2:3] offset:80 scale_offset
	global_load_b32 v1, v4, s[0:1] offset:72 scale_offset
	s_wait_loadcnt 0x0
	s_clause 0x1
	global_store_b32 v4, v1, s[2:3] offset:76 scale_offset
	global_load_b32 v1, v4, s[0:1] offset:68 scale_offset
	s_wait_loadcnt 0x0
	s_clause 0x1
	global_store_b32 v4, v1, s[2:3] offset:72 scale_offset
	global_load_b32 v1, v4, s[0:1] offset:64 scale_offset
	s_wait_loadcnt 0x0
	s_clause 0x1
	global_store_b32 v4, v1, s[2:3] offset:68 scale_offset
	global_load_b32 v1, v4, s[0:1] offset:60 scale_offset
	s_wait_loadcnt 0x0
	s_clause 0x1
	global_store_b32 v4, v1, s[2:3] offset:64 scale_offset
	global_load_b32 v1, v4, s[0:1] offset:56 scale_offset
	s_wait_loadcnt 0x0
	s_clause 0x1
	global_store_b32 v4, v1, s[2:3] offset:60 scale_offset
	global_load_b32 v1, v4, s[0:1] offset:52 scale_offset
	s_wait_loadcnt 0x0
	s_clause 0x1
	global_store_b32 v4, v1, s[2:3] offset:56 scale_offset
	global_load_b32 v1, v4, s[0:1] offset:48 scale_offset
	s_wait_loadcnt 0x0
	s_clause 0x1
	global_store_b32 v4, v1, s[2:3] offset:52 scale_offset
	global_load_b32 v1, v4, s[0:1] offset:44 scale_offset
	s_wait_loadcnt 0x0
	s_clause 0x1
	global_store_b32 v4, v1, s[2:3] offset:48 scale_offset
	global_load_b32 v1, v4, s[0:1] offset:40 scale_offset
	s_wait_loadcnt 0x0
	s_clause 0x1
	global_store_b32 v4, v1, s[2:3] offset:44 scale_offset
	global_load_b32 v1, v4, s[0:1] offset:36 scale_offset
	s_wait_loadcnt 0x0
	s_clause 0x1
	global_store_b32 v4, v1, s[2:3] offset:40 scale_offset
	global_load_b32 v1, v4, s[0:1] offset:32 scale_offset
	s_wait_loadcnt 0x0
	s_clause 0x1
	global_store_b32 v4, v1, s[2:3] offset:36 scale_offset
	global_load_b32 v1, v4, s[0:1] offset:28 scale_offset
	s_wait_loadcnt 0x0
	s_clause 0x1
	global_store_b32 v4, v1, s[2:3] offset:32 scale_offset
	global_load_b32 v1, v4, s[0:1] offset:24 scale_offset
	s_wait_loadcnt 0x0
	s_clause 0x1
	global_store_b32 v4, v1, s[2:3] offset:28 scale_offset
	global_load_b32 v1, v4, s[0:1] offset:20 scale_offset
	s_wait_loadcnt 0x0
	s_clause 0x1
	global_store_b32 v4, v1, s[2:3] offset:24 scale_offset
	global_load_b32 v1, v4, s[0:1] offset:16 scale_offset
	s_wait_loadcnt 0x0
	s_clause 0x1
	global_store_b32 v4, v1, s[2:3] offset:20 scale_offset
	global_load_b32 v1, v4, s[0:1] offset:12 scale_offset
	s_wait_loadcnt 0x0
	s_clause 0x1
	global_store_b32 v4, v1, s[2:3] offset:16 scale_offset
	global_load_b32 v1, v4, s[0:1] offset:8 scale_offset
	s_wait_loadcnt 0x0
	s_clause 0x1
	global_store_b32 v4, v1, s[2:3] offset:12 scale_offset
	global_load_b32 v1, v4, s[0:1] offset:4 scale_offset
	s_wait_loadcnt 0x0
	s_clause 0x1
	global_store_b32 v4, v1, s[2:3] offset:8 scale_offset
	global_load_b32 v5, v4, s[0:1] scale_offset
	s_wait_xcnt 0x1
	v_lshlrev_b32_e32 v1, 2, v0
	s_wait_xcnt 0x0
	s_mov_b32 s0, exec_lo
	ds_store_b32 v1, v7
	s_wait_loadcnt 0x0
	global_store_b32 v4, v5, s[2:3] offset:4 scale_offset
	s_wait_storecnt_dscnt 0x0
	s_barrier_signal -1
	s_barrier_wait -1
	s_wait_xcnt 0x0
	v_cmpx_ne_u32_e32 0, v0
	s_cbranch_execz .LBB49_2
; %bb.1:
	v_add_nc_u32_e32 v0, -4, v1
	ds_load_b32 v4, v0
	v_add_nc_u64_e32 v[0:1], s[2:3], v[2:3]
	s_wait_dscnt 0x0
	global_store_b32 v[0:1], v4, off
.LBB49_2:
	s_endpgm
	.section	.rodata,"a",@progbits
	.p2align	6, 0x0
	.amdhsa_kernel _Z17shuffle_up_kernelILj128ELj128EiEvPT1_S1_
		.amdhsa_group_segment_fixed_size 512
		.amdhsa_private_segment_fixed_size 0
		.amdhsa_kernarg_size 16
		.amdhsa_user_sgpr_count 2
		.amdhsa_user_sgpr_dispatch_ptr 0
		.amdhsa_user_sgpr_queue_ptr 0
		.amdhsa_user_sgpr_kernarg_segment_ptr 1
		.amdhsa_user_sgpr_dispatch_id 0
		.amdhsa_user_sgpr_kernarg_preload_length 0
		.amdhsa_user_sgpr_kernarg_preload_offset 0
		.amdhsa_user_sgpr_private_segment_size 0
		.amdhsa_wavefront_size32 1
		.amdhsa_uses_dynamic_stack 0
		.amdhsa_enable_private_segment 0
		.amdhsa_system_sgpr_workgroup_id_x 1
		.amdhsa_system_sgpr_workgroup_id_y 0
		.amdhsa_system_sgpr_workgroup_id_z 0
		.amdhsa_system_sgpr_workgroup_info 0
		.amdhsa_system_vgpr_workitem_id 0
		.amdhsa_next_free_vgpr 8
		.amdhsa_next_free_sgpr 7
		.amdhsa_named_barrier_count 0
		.amdhsa_reserve_vcc 0
		.amdhsa_float_round_mode_32 0
		.amdhsa_float_round_mode_16_64 0
		.amdhsa_float_denorm_mode_32 3
		.amdhsa_float_denorm_mode_16_64 3
		.amdhsa_fp16_overflow 0
		.amdhsa_memory_ordered 1
		.amdhsa_forward_progress 1
		.amdhsa_inst_pref_size 34
		.amdhsa_round_robin_scheduling 0
		.amdhsa_exception_fp_ieee_invalid_op 0
		.amdhsa_exception_fp_denorm_src 0
		.amdhsa_exception_fp_ieee_div_zero 0
		.amdhsa_exception_fp_ieee_overflow 0
		.amdhsa_exception_fp_ieee_underflow 0
		.amdhsa_exception_fp_ieee_inexact 0
		.amdhsa_exception_int_div_zero 0
	.end_amdhsa_kernel
	.section	.text._Z17shuffle_up_kernelILj128ELj128EiEvPT1_S1_,"axG",@progbits,_Z17shuffle_up_kernelILj128ELj128EiEvPT1_S1_,comdat
.Lfunc_end49:
	.size	_Z17shuffle_up_kernelILj128ELj128EiEvPT1_S1_, .Lfunc_end49-_Z17shuffle_up_kernelILj128ELj128EiEvPT1_S1_
                                        ; -- End function
	.set _Z17shuffle_up_kernelILj128ELj128EiEvPT1_S1_.num_vgpr, 8
	.set _Z17shuffle_up_kernelILj128ELj128EiEvPT1_S1_.num_agpr, 0
	.set _Z17shuffle_up_kernelILj128ELj128EiEvPT1_S1_.numbered_sgpr, 7
	.set _Z17shuffle_up_kernelILj128ELj128EiEvPT1_S1_.num_named_barrier, 0
	.set _Z17shuffle_up_kernelILj128ELj128EiEvPT1_S1_.private_seg_size, 0
	.set _Z17shuffle_up_kernelILj128ELj128EiEvPT1_S1_.uses_vcc, 0
	.set _Z17shuffle_up_kernelILj128ELj128EiEvPT1_S1_.uses_flat_scratch, 0
	.set _Z17shuffle_up_kernelILj128ELj128EiEvPT1_S1_.has_dyn_sized_stack, 0
	.set _Z17shuffle_up_kernelILj128ELj128EiEvPT1_S1_.has_recursion, 0
	.set _Z17shuffle_up_kernelILj128ELj128EiEvPT1_S1_.has_indirect_call, 0
	.section	.AMDGPU.csdata,"",@progbits
; Kernel info:
; codeLenInByte = 4228
; TotalNumSgprs: 7
; NumVgprs: 8
; ScratchSize: 0
; MemoryBound: 1
; FloatMode: 240
; IeeeMode: 1
; LDSByteSize: 512 bytes/workgroup (compile time only)
; SGPRBlocks: 0
; VGPRBlocks: 0
; NumSGPRsForWavesPerEU: 7
; NumVGPRsForWavesPerEU: 8
; NamedBarCnt: 0
; Occupancy: 16
; WaveLimiterHint : 1
; COMPUTE_PGM_RSRC2:SCRATCH_EN: 0
; COMPUTE_PGM_RSRC2:USER_SGPR: 2
; COMPUTE_PGM_RSRC2:TRAP_HANDLER: 0
; COMPUTE_PGM_RSRC2:TGID_X_EN: 1
; COMPUTE_PGM_RSRC2:TGID_Y_EN: 0
; COMPUTE_PGM_RSRC2:TGID_Z_EN: 0
; COMPUTE_PGM_RSRC2:TIDIG_COMP_CNT: 0
	.section	.text._Z17shuffle_up_kernelILj64ELj128EiEvPT1_S1_,"axG",@progbits,_Z17shuffle_up_kernelILj64ELj128EiEvPT1_S1_,comdat
	.protected	_Z17shuffle_up_kernelILj64ELj128EiEvPT1_S1_ ; -- Begin function _Z17shuffle_up_kernelILj64ELj128EiEvPT1_S1_
	.globl	_Z17shuffle_up_kernelILj64ELj128EiEvPT1_S1_
	.p2align	8
	.type	_Z17shuffle_up_kernelILj64ELj128EiEvPT1_S1_,@function
_Z17shuffle_up_kernelILj64ELj128EiEvPT1_S1_: ; @_Z17shuffle_up_kernelILj64ELj128EiEvPT1_S1_
; %bb.0:
	s_bfe_u32 s4, ttmp6, 0x4000c
	s_load_b128 s[0:3], s[0:1], 0x0
	s_add_co_i32 s4, s4, 1
	s_and_b32 s5, ttmp6, 15
	s_mul_i32 s4, ttmp9, s4
	s_getreg_b32 s6, hwreg(HW_REG_IB_STS2, 6, 4)
	v_dual_lshlrev_b32 v1, 7, v0 :: v_dual_mov_b32 v5, 0
	s_add_co_i32 s5, s5, s4
	s_cmp_eq_u32 s6, 0
	s_cselect_b32 s4, ttmp9, s5
	s_delay_alu instid0(VALU_DEP_1) | instid1(SALU_CYCLE_1)
	v_lshl_or_b32 v4, s4, 13, v1
	s_delay_alu instid0(VALU_DEP_1) | instskip(SKIP_1) | instid1(VALU_DEP_1)
	v_lshlrev_b64_e32 v[2:3], 2, v[4:5]
	s_wait_kmcnt 0x0
	v_add_nc_u64_e32 v[6:7], s[0:1], v[2:3]
	global_load_b64 v[6:7], v[6:7], off offset:504
	s_wait_loadcnt 0x0
	s_clause 0x1
	global_store_b32 v4, v6, s[2:3] offset:508 scale_offset
	global_load_b32 v1, v4, s[0:1] offset:500 scale_offset
	s_wait_loadcnt 0x0
	s_clause 0x1
	global_store_b32 v4, v1, s[2:3] offset:504 scale_offset
	global_load_b32 v1, v4, s[0:1] offset:496 scale_offset
	;; [unrolled: 4-line block ×125, first 2 shown]
	s_wait_loadcnt 0x0
	s_clause 0x1
	global_store_b32 v4, v1, s[2:3] offset:8 scale_offset
	global_load_b32 v5, v4, s[0:1] scale_offset
	s_wait_xcnt 0x1
	v_lshlrev_b32_e32 v1, 2, v0
	s_wait_xcnt 0x0
	s_mov_b32 s0, exec_lo
	ds_store_b32 v1, v7
	s_wait_loadcnt 0x0
	global_store_b32 v4, v5, s[2:3] offset:4 scale_offset
	s_wait_storecnt_dscnt 0x0
	s_barrier_signal -1
	s_barrier_wait -1
	s_wait_xcnt 0x0
	v_cmpx_ne_u32_e32 0, v0
	s_cbranch_execz .LBB50_2
; %bb.1:
	v_add_nc_u32_e32 v0, -4, v1
	ds_load_b32 v4, v0
	v_add_nc_u64_e32 v[0:1], s[2:3], v[2:3]
	s_wait_dscnt 0x0
	global_store_b32 v[0:1], v4, off
.LBB50_2:
	s_endpgm
	.section	.rodata,"a",@progbits
	.p2align	6, 0x0
	.amdhsa_kernel _Z17shuffle_up_kernelILj64ELj128EiEvPT1_S1_
		.amdhsa_group_segment_fixed_size 256
		.amdhsa_private_segment_fixed_size 0
		.amdhsa_kernarg_size 16
		.amdhsa_user_sgpr_count 2
		.amdhsa_user_sgpr_dispatch_ptr 0
		.amdhsa_user_sgpr_queue_ptr 0
		.amdhsa_user_sgpr_kernarg_segment_ptr 1
		.amdhsa_user_sgpr_dispatch_id 0
		.amdhsa_user_sgpr_kernarg_preload_length 0
		.amdhsa_user_sgpr_kernarg_preload_offset 0
		.amdhsa_user_sgpr_private_segment_size 0
		.amdhsa_wavefront_size32 1
		.amdhsa_uses_dynamic_stack 0
		.amdhsa_enable_private_segment 0
		.amdhsa_system_sgpr_workgroup_id_x 1
		.amdhsa_system_sgpr_workgroup_id_y 0
		.amdhsa_system_sgpr_workgroup_id_z 0
		.amdhsa_system_sgpr_workgroup_info 0
		.amdhsa_system_vgpr_workitem_id 0
		.amdhsa_next_free_vgpr 8
		.amdhsa_next_free_sgpr 7
		.amdhsa_named_barrier_count 0
		.amdhsa_reserve_vcc 0
		.amdhsa_float_round_mode_32 0
		.amdhsa_float_round_mode_16_64 0
		.amdhsa_float_denorm_mode_32 3
		.amdhsa_float_denorm_mode_16_64 3
		.amdhsa_fp16_overflow 0
		.amdhsa_memory_ordered 1
		.amdhsa_forward_progress 1
		.amdhsa_inst_pref_size 34
		.amdhsa_round_robin_scheduling 0
		.amdhsa_exception_fp_ieee_invalid_op 0
		.amdhsa_exception_fp_denorm_src 0
		.amdhsa_exception_fp_ieee_div_zero 0
		.amdhsa_exception_fp_ieee_overflow 0
		.amdhsa_exception_fp_ieee_underflow 0
		.amdhsa_exception_fp_ieee_inexact 0
		.amdhsa_exception_int_div_zero 0
	.end_amdhsa_kernel
	.section	.text._Z17shuffle_up_kernelILj64ELj128EiEvPT1_S1_,"axG",@progbits,_Z17shuffle_up_kernelILj64ELj128EiEvPT1_S1_,comdat
.Lfunc_end50:
	.size	_Z17shuffle_up_kernelILj64ELj128EiEvPT1_S1_, .Lfunc_end50-_Z17shuffle_up_kernelILj64ELj128EiEvPT1_S1_
                                        ; -- End function
	.set _Z17shuffle_up_kernelILj64ELj128EiEvPT1_S1_.num_vgpr, 8
	.set _Z17shuffle_up_kernelILj64ELj128EiEvPT1_S1_.num_agpr, 0
	.set _Z17shuffle_up_kernelILj64ELj128EiEvPT1_S1_.numbered_sgpr, 7
	.set _Z17shuffle_up_kernelILj64ELj128EiEvPT1_S1_.num_named_barrier, 0
	.set _Z17shuffle_up_kernelILj64ELj128EiEvPT1_S1_.private_seg_size, 0
	.set _Z17shuffle_up_kernelILj64ELj128EiEvPT1_S1_.uses_vcc, 0
	.set _Z17shuffle_up_kernelILj64ELj128EiEvPT1_S1_.uses_flat_scratch, 0
	.set _Z17shuffle_up_kernelILj64ELj128EiEvPT1_S1_.has_dyn_sized_stack, 0
	.set _Z17shuffle_up_kernelILj64ELj128EiEvPT1_S1_.has_recursion, 0
	.set _Z17shuffle_up_kernelILj64ELj128EiEvPT1_S1_.has_indirect_call, 0
	.section	.AMDGPU.csdata,"",@progbits
; Kernel info:
; codeLenInByte = 4228
; TotalNumSgprs: 7
; NumVgprs: 8
; ScratchSize: 0
; MemoryBound: 1
; FloatMode: 240
; IeeeMode: 1
; LDSByteSize: 256 bytes/workgroup (compile time only)
; SGPRBlocks: 0
; VGPRBlocks: 0
; NumSGPRsForWavesPerEU: 7
; NumVGPRsForWavesPerEU: 8
; NamedBarCnt: 0
; Occupancy: 16
; WaveLimiterHint : 1
; COMPUTE_PGM_RSRC2:SCRATCH_EN: 0
; COMPUTE_PGM_RSRC2:USER_SGPR: 2
; COMPUTE_PGM_RSRC2:TRAP_HANDLER: 0
; COMPUTE_PGM_RSRC2:TGID_X_EN: 1
; COMPUTE_PGM_RSRC2:TGID_Y_EN: 0
; COMPUTE_PGM_RSRC2:TGID_Z_EN: 0
; COMPUTE_PGM_RSRC2:TIDIG_COMP_CNT: 0
	.section	.text._Z19shuffle_down_kernelILj32ELj128E12hip_bfloat16EvPT1_S2_,"axG",@progbits,_Z19shuffle_down_kernelILj32ELj128E12hip_bfloat16EvPT1_S2_,comdat
	.protected	_Z19shuffle_down_kernelILj32ELj128E12hip_bfloat16EvPT1_S2_ ; -- Begin function _Z19shuffle_down_kernelILj32ELj128E12hip_bfloat16EvPT1_S2_
	.globl	_Z19shuffle_down_kernelILj32ELj128E12hip_bfloat16EvPT1_S2_
	.p2align	8
	.type	_Z19shuffle_down_kernelILj32ELj128E12hip_bfloat16EvPT1_S2_,@function
_Z19shuffle_down_kernelILj32ELj128E12hip_bfloat16EvPT1_S2_: ; @_Z19shuffle_down_kernelILj32ELj128E12hip_bfloat16EvPT1_S2_
; %bb.0:
	s_bfe_u32 s4, ttmp6, 0x4000c
	s_load_b128 s[0:3], s[0:1], 0x0
	s_add_co_i32 s4, s4, 1
	s_and_b32 s5, ttmp6, 15
	s_mul_i32 s4, ttmp9, s4
	s_getreg_b32 s6, hwreg(HW_REG_IB_STS2, 6, 4)
	v_dual_lshlrev_b32 v1, 7, v0 :: v_dual_mov_b32 v5, 0
	s_add_co_i32 s5, s5, s4
	s_cmp_eq_u32 s6, 0
	s_cselect_b32 s4, ttmp9, s5
	s_delay_alu instid0(VALU_DEP_1) | instid1(SALU_CYCLE_1)
	v_lshl_or_b32 v4, s4, 12, v1
	s_delay_alu instid0(VALU_DEP_1) | instskip(SKIP_1) | instid1(VALU_DEP_1)
	v_lshlrev_b64_e32 v[2:3], 1, v[4:5]
	s_wait_kmcnt 0x0
	v_add_nc_u64_e32 v[6:7], s[0:1], v[2:3]
	global_load_b32 v5, v[6:7], off
	s_wait_loadcnt 0x0
	s_clause 0x1
	global_store_d16_hi_b16 v4, v5, s[2:3] scale_offset
	global_load_u16 v1, v4, s[0:1] offset:4 scale_offset
	s_wait_loadcnt 0x0
	s_clause 0x1
	global_store_b16 v4, v1, s[2:3] offset:2 scale_offset
	global_load_u16 v1, v4, s[0:1] offset:6 scale_offset
	s_wait_loadcnt 0x0
	s_clause 0x1
	global_store_b16 v4, v1, s[2:3] offset:4 scale_offset
	;; [unrolled: 4-line block ×125, first 2 shown]
	global_load_u16 v6, v4, s[0:1] offset:254 scale_offset
	s_wait_xcnt 0x1
	v_lshlrev_b32_e32 v1, 1, v0
	s_wait_xcnt 0x0
	s_mov_b32 s0, exec_lo
	ds_store_b16 v1, v5
	s_wait_loadcnt 0x0
	global_store_b16 v4, v6, s[2:3] offset:252 scale_offset
	; wave barrier
	s_wait_storecnt_dscnt 0x0
	s_wait_xcnt 0x0
	v_cmpx_gt_u32_e32 31, v0
	s_cbranch_execz .LBB51_2
; %bb.1:
	ds_load_u16 v4, v1 offset:2
	v_add_nc_u64_e32 v[0:1], s[2:3], v[2:3]
	s_wait_dscnt 0x0
	global_store_b16 v[0:1], v4, off offset:254
.LBB51_2:
	s_endpgm
	.section	.rodata,"a",@progbits
	.p2align	6, 0x0
	.amdhsa_kernel _Z19shuffle_down_kernelILj32ELj128E12hip_bfloat16EvPT1_S2_
		.amdhsa_group_segment_fixed_size 64
		.amdhsa_private_segment_fixed_size 0
		.amdhsa_kernarg_size 16
		.amdhsa_user_sgpr_count 2
		.amdhsa_user_sgpr_dispatch_ptr 0
		.amdhsa_user_sgpr_queue_ptr 0
		.amdhsa_user_sgpr_kernarg_segment_ptr 1
		.amdhsa_user_sgpr_dispatch_id 0
		.amdhsa_user_sgpr_kernarg_preload_length 0
		.amdhsa_user_sgpr_kernarg_preload_offset 0
		.amdhsa_user_sgpr_private_segment_size 0
		.amdhsa_wavefront_size32 1
		.amdhsa_uses_dynamic_stack 0
		.amdhsa_enable_private_segment 0
		.amdhsa_system_sgpr_workgroup_id_x 1
		.amdhsa_system_sgpr_workgroup_id_y 0
		.amdhsa_system_sgpr_workgroup_id_z 0
		.amdhsa_system_sgpr_workgroup_info 0
		.amdhsa_system_vgpr_workitem_id 0
		.amdhsa_next_free_vgpr 8
		.amdhsa_next_free_sgpr 7
		.amdhsa_named_barrier_count 0
		.amdhsa_reserve_vcc 0
		.amdhsa_float_round_mode_32 0
		.amdhsa_float_round_mode_16_64 0
		.amdhsa_float_denorm_mode_32 3
		.amdhsa_float_denorm_mode_16_64 3
		.amdhsa_fp16_overflow 0
		.amdhsa_memory_ordered 1
		.amdhsa_forward_progress 1
		.amdhsa_inst_pref_size 33
		.amdhsa_round_robin_scheduling 0
		.amdhsa_exception_fp_ieee_invalid_op 0
		.amdhsa_exception_fp_denorm_src 0
		.amdhsa_exception_fp_ieee_div_zero 0
		.amdhsa_exception_fp_ieee_overflow 0
		.amdhsa_exception_fp_ieee_underflow 0
		.amdhsa_exception_fp_ieee_inexact 0
		.amdhsa_exception_int_div_zero 0
	.end_amdhsa_kernel
	.section	.text._Z19shuffle_down_kernelILj32ELj128E12hip_bfloat16EvPT1_S2_,"axG",@progbits,_Z19shuffle_down_kernelILj32ELj128E12hip_bfloat16EvPT1_S2_,comdat
.Lfunc_end51:
	.size	_Z19shuffle_down_kernelILj32ELj128E12hip_bfloat16EvPT1_S2_, .Lfunc_end51-_Z19shuffle_down_kernelILj32ELj128E12hip_bfloat16EvPT1_S2_
                                        ; -- End function
	.set _Z19shuffle_down_kernelILj32ELj128E12hip_bfloat16EvPT1_S2_.num_vgpr, 8
	.set _Z19shuffle_down_kernelILj32ELj128E12hip_bfloat16EvPT1_S2_.num_agpr, 0
	.set _Z19shuffle_down_kernelILj32ELj128E12hip_bfloat16EvPT1_S2_.numbered_sgpr, 7
	.set _Z19shuffle_down_kernelILj32ELj128E12hip_bfloat16EvPT1_S2_.num_named_barrier, 0
	.set _Z19shuffle_down_kernelILj32ELj128E12hip_bfloat16EvPT1_S2_.private_seg_size, 0
	.set _Z19shuffle_down_kernelILj32ELj128E12hip_bfloat16EvPT1_S2_.uses_vcc, 0
	.set _Z19shuffle_down_kernelILj32ELj128E12hip_bfloat16EvPT1_S2_.uses_flat_scratch, 0
	.set _Z19shuffle_down_kernelILj32ELj128E12hip_bfloat16EvPT1_S2_.has_dyn_sized_stack, 0
	.set _Z19shuffle_down_kernelILj32ELj128E12hip_bfloat16EvPT1_S2_.has_recursion, 0
	.set _Z19shuffle_down_kernelILj32ELj128E12hip_bfloat16EvPT1_S2_.has_indirect_call, 0
	.section	.AMDGPU.csdata,"",@progbits
; Kernel info:
; codeLenInByte = 4216
; TotalNumSgprs: 7
; NumVgprs: 8
; ScratchSize: 0
; MemoryBound: 1
; FloatMode: 240
; IeeeMode: 1
; LDSByteSize: 64 bytes/workgroup (compile time only)
; SGPRBlocks: 0
; VGPRBlocks: 0
; NumSGPRsForWavesPerEU: 7
; NumVGPRsForWavesPerEU: 8
; NamedBarCnt: 0
; Occupancy: 16
; WaveLimiterHint : 1
; COMPUTE_PGM_RSRC2:SCRATCH_EN: 0
; COMPUTE_PGM_RSRC2:USER_SGPR: 2
; COMPUTE_PGM_RSRC2:TRAP_HANDLER: 0
; COMPUTE_PGM_RSRC2:TGID_X_EN: 1
; COMPUTE_PGM_RSRC2:TGID_Y_EN: 0
; COMPUTE_PGM_RSRC2:TGID_Z_EN: 0
; COMPUTE_PGM_RSRC2:TIDIG_COMP_CNT: 0
	.section	.text._Z19shuffle_down_kernelILj32ELj128E6__halfEvPT1_S2_,"axG",@progbits,_Z19shuffle_down_kernelILj32ELj128E6__halfEvPT1_S2_,comdat
	.protected	_Z19shuffle_down_kernelILj32ELj128E6__halfEvPT1_S2_ ; -- Begin function _Z19shuffle_down_kernelILj32ELj128E6__halfEvPT1_S2_
	.globl	_Z19shuffle_down_kernelILj32ELj128E6__halfEvPT1_S2_
	.p2align	8
	.type	_Z19shuffle_down_kernelILj32ELj128E6__halfEvPT1_S2_,@function
_Z19shuffle_down_kernelILj32ELj128E6__halfEvPT1_S2_: ; @_Z19shuffle_down_kernelILj32ELj128E6__halfEvPT1_S2_
; %bb.0:
	s_bfe_u32 s4, ttmp6, 0x4000c
	s_load_b128 s[0:3], s[0:1], 0x0
	s_add_co_i32 s4, s4, 1
	s_and_b32 s5, ttmp6, 15
	s_mul_i32 s4, ttmp9, s4
	s_getreg_b32 s6, hwreg(HW_REG_IB_STS2, 6, 4)
	v_dual_lshlrev_b32 v1, 7, v0 :: v_dual_mov_b32 v5, 0
	s_add_co_i32 s5, s5, s4
	s_cmp_eq_u32 s6, 0
	s_cselect_b32 s4, ttmp9, s5
	s_delay_alu instid0(VALU_DEP_1) | instid1(SALU_CYCLE_1)
	v_lshl_or_b32 v4, s4, 12, v1
	s_delay_alu instid0(VALU_DEP_1) | instskip(SKIP_1) | instid1(VALU_DEP_1)
	v_lshlrev_b64_e32 v[2:3], 1, v[4:5]
	s_wait_kmcnt 0x0
	v_add_nc_u64_e32 v[6:7], s[0:1], v[2:3]
	global_load_b32 v5, v[6:7], off
	s_wait_loadcnt 0x0
	s_clause 0x1
	global_store_d16_hi_b16 v4, v5, s[2:3] scale_offset
	global_load_u16 v1, v4, s[0:1] offset:4 scale_offset
	s_wait_loadcnt 0x0
	s_clause 0x1
	global_store_b16 v4, v1, s[2:3] offset:2 scale_offset
	global_load_u16 v1, v4, s[0:1] offset:6 scale_offset
	s_wait_loadcnt 0x0
	s_clause 0x1
	global_store_b16 v4, v1, s[2:3] offset:4 scale_offset
	;; [unrolled: 4-line block ×125, first 2 shown]
	global_load_u16 v6, v4, s[0:1] offset:254 scale_offset
	s_wait_xcnt 0x1
	v_lshlrev_b32_e32 v1, 1, v0
	s_wait_xcnt 0x0
	s_mov_b32 s0, exec_lo
	ds_store_b16 v1, v5
	s_wait_loadcnt 0x0
	global_store_b16 v4, v6, s[2:3] offset:252 scale_offset
	; wave barrier
	s_wait_storecnt_dscnt 0x0
	s_wait_xcnt 0x0
	v_cmpx_gt_u32_e32 31, v0
	s_cbranch_execz .LBB52_2
; %bb.1:
	ds_load_u16 v4, v1 offset:2
	v_add_nc_u64_e32 v[0:1], s[2:3], v[2:3]
	s_wait_dscnt 0x0
	global_store_b16 v[0:1], v4, off offset:254
.LBB52_2:
	s_endpgm
	.section	.rodata,"a",@progbits
	.p2align	6, 0x0
	.amdhsa_kernel _Z19shuffle_down_kernelILj32ELj128E6__halfEvPT1_S2_
		.amdhsa_group_segment_fixed_size 64
		.amdhsa_private_segment_fixed_size 0
		.amdhsa_kernarg_size 16
		.amdhsa_user_sgpr_count 2
		.amdhsa_user_sgpr_dispatch_ptr 0
		.amdhsa_user_sgpr_queue_ptr 0
		.amdhsa_user_sgpr_kernarg_segment_ptr 1
		.amdhsa_user_sgpr_dispatch_id 0
		.amdhsa_user_sgpr_kernarg_preload_length 0
		.amdhsa_user_sgpr_kernarg_preload_offset 0
		.amdhsa_user_sgpr_private_segment_size 0
		.amdhsa_wavefront_size32 1
		.amdhsa_uses_dynamic_stack 0
		.amdhsa_enable_private_segment 0
		.amdhsa_system_sgpr_workgroup_id_x 1
		.amdhsa_system_sgpr_workgroup_id_y 0
		.amdhsa_system_sgpr_workgroup_id_z 0
		.amdhsa_system_sgpr_workgroup_info 0
		.amdhsa_system_vgpr_workitem_id 0
		.amdhsa_next_free_vgpr 8
		.amdhsa_next_free_sgpr 7
		.amdhsa_named_barrier_count 0
		.amdhsa_reserve_vcc 0
		.amdhsa_float_round_mode_32 0
		.amdhsa_float_round_mode_16_64 0
		.amdhsa_float_denorm_mode_32 3
		.amdhsa_float_denorm_mode_16_64 3
		.amdhsa_fp16_overflow 0
		.amdhsa_memory_ordered 1
		.amdhsa_forward_progress 1
		.amdhsa_inst_pref_size 33
		.amdhsa_round_robin_scheduling 0
		.amdhsa_exception_fp_ieee_invalid_op 0
		.amdhsa_exception_fp_denorm_src 0
		.amdhsa_exception_fp_ieee_div_zero 0
		.amdhsa_exception_fp_ieee_overflow 0
		.amdhsa_exception_fp_ieee_underflow 0
		.amdhsa_exception_fp_ieee_inexact 0
		.amdhsa_exception_int_div_zero 0
	.end_amdhsa_kernel
	.section	.text._Z19shuffle_down_kernelILj32ELj128E6__halfEvPT1_S2_,"axG",@progbits,_Z19shuffle_down_kernelILj32ELj128E6__halfEvPT1_S2_,comdat
.Lfunc_end52:
	.size	_Z19shuffle_down_kernelILj32ELj128E6__halfEvPT1_S2_, .Lfunc_end52-_Z19shuffle_down_kernelILj32ELj128E6__halfEvPT1_S2_
                                        ; -- End function
	.set _Z19shuffle_down_kernelILj32ELj128E6__halfEvPT1_S2_.num_vgpr, 8
	.set _Z19shuffle_down_kernelILj32ELj128E6__halfEvPT1_S2_.num_agpr, 0
	.set _Z19shuffle_down_kernelILj32ELj128E6__halfEvPT1_S2_.numbered_sgpr, 7
	.set _Z19shuffle_down_kernelILj32ELj128E6__halfEvPT1_S2_.num_named_barrier, 0
	.set _Z19shuffle_down_kernelILj32ELj128E6__halfEvPT1_S2_.private_seg_size, 0
	.set _Z19shuffle_down_kernelILj32ELj128E6__halfEvPT1_S2_.uses_vcc, 0
	.set _Z19shuffle_down_kernelILj32ELj128E6__halfEvPT1_S2_.uses_flat_scratch, 0
	.set _Z19shuffle_down_kernelILj32ELj128E6__halfEvPT1_S2_.has_dyn_sized_stack, 0
	.set _Z19shuffle_down_kernelILj32ELj128E6__halfEvPT1_S2_.has_recursion, 0
	.set _Z19shuffle_down_kernelILj32ELj128E6__halfEvPT1_S2_.has_indirect_call, 0
	.section	.AMDGPU.csdata,"",@progbits
; Kernel info:
; codeLenInByte = 4216
; TotalNumSgprs: 7
; NumVgprs: 8
; ScratchSize: 0
; MemoryBound: 1
; FloatMode: 240
; IeeeMode: 1
; LDSByteSize: 64 bytes/workgroup (compile time only)
; SGPRBlocks: 0
; VGPRBlocks: 0
; NumSGPRsForWavesPerEU: 7
; NumVGPRsForWavesPerEU: 8
; NamedBarCnt: 0
; Occupancy: 16
; WaveLimiterHint : 1
; COMPUTE_PGM_RSRC2:SCRATCH_EN: 0
; COMPUTE_PGM_RSRC2:USER_SGPR: 2
; COMPUTE_PGM_RSRC2:TRAP_HANDLER: 0
; COMPUTE_PGM_RSRC2:TGID_X_EN: 1
; COMPUTE_PGM_RSRC2:TGID_Y_EN: 0
; COMPUTE_PGM_RSRC2:TGID_Z_EN: 0
; COMPUTE_PGM_RSRC2:TIDIG_COMP_CNT: 0
	.section	.text._Z19shuffle_down_kernelILj32ELj128EfEvPT1_S1_,"axG",@progbits,_Z19shuffle_down_kernelILj32ELj128EfEvPT1_S1_,comdat
	.protected	_Z19shuffle_down_kernelILj32ELj128EfEvPT1_S1_ ; -- Begin function _Z19shuffle_down_kernelILj32ELj128EfEvPT1_S1_
	.globl	_Z19shuffle_down_kernelILj32ELj128EfEvPT1_S1_
	.p2align	8
	.type	_Z19shuffle_down_kernelILj32ELj128EfEvPT1_S1_,@function
_Z19shuffle_down_kernelILj32ELj128EfEvPT1_S1_: ; @_Z19shuffle_down_kernelILj32ELj128EfEvPT1_S1_
; %bb.0:
	s_bfe_u32 s4, ttmp6, 0x4000c
	s_load_b128 s[0:3], s[0:1], 0x0
	s_add_co_i32 s4, s4, 1
	s_and_b32 s5, ttmp6, 15
	s_mul_i32 s4, ttmp9, s4
	s_getreg_b32 s6, hwreg(HW_REG_IB_STS2, 6, 4)
	v_dual_lshlrev_b32 v1, 7, v0 :: v_dual_mov_b32 v5, 0
	s_add_co_i32 s5, s5, s4
	s_cmp_eq_u32 s6, 0
	s_cselect_b32 s4, ttmp9, s5
	s_delay_alu instid0(VALU_DEP_1) | instid1(SALU_CYCLE_1)
	v_lshl_or_b32 v4, s4, 12, v1
	s_delay_alu instid0(VALU_DEP_1) | instskip(SKIP_1) | instid1(VALU_DEP_1)
	v_lshlrev_b64_e32 v[2:3], 2, v[4:5]
	s_wait_kmcnt 0x0
	v_add_nc_u64_e32 v[6:7], s[0:1], v[2:3]
	global_load_b64 v[6:7], v[6:7], off
	s_wait_loadcnt 0x0
	s_clause 0x1
	global_store_b32 v4, v7, s[2:3] scale_offset
	global_load_b32 v1, v4, s[0:1] offset:8 scale_offset
	s_wait_loadcnt 0x0
	s_clause 0x1
	global_store_b32 v4, v1, s[2:3] offset:4 scale_offset
	global_load_b32 v1, v4, s[0:1] offset:12 scale_offset
	s_wait_loadcnt 0x0
	s_clause 0x1
	global_store_b32 v4, v1, s[2:3] offset:8 scale_offset
	;; [unrolled: 4-line block ×125, first 2 shown]
	global_load_b32 v5, v4, s[0:1] offset:508 scale_offset
	s_wait_xcnt 0x1
	v_lshlrev_b32_e32 v1, 2, v0
	s_wait_xcnt 0x0
	s_mov_b32 s0, exec_lo
	ds_store_b32 v1, v6
	s_wait_loadcnt 0x0
	global_store_b32 v4, v5, s[2:3] offset:504 scale_offset
	; wave barrier
	s_wait_storecnt_dscnt 0x0
	s_wait_xcnt 0x0
	v_cmpx_gt_u32_e32 31, v0
	s_cbranch_execz .LBB53_2
; %bb.1:
	ds_load_b32 v4, v1 offset:4
	v_add_nc_u64_e32 v[0:1], s[2:3], v[2:3]
	s_wait_dscnt 0x0
	global_store_b32 v[0:1], v4, off offset:508
.LBB53_2:
	s_endpgm
	.section	.rodata,"a",@progbits
	.p2align	6, 0x0
	.amdhsa_kernel _Z19shuffle_down_kernelILj32ELj128EfEvPT1_S1_
		.amdhsa_group_segment_fixed_size 128
		.amdhsa_private_segment_fixed_size 0
		.amdhsa_kernarg_size 16
		.amdhsa_user_sgpr_count 2
		.amdhsa_user_sgpr_dispatch_ptr 0
		.amdhsa_user_sgpr_queue_ptr 0
		.amdhsa_user_sgpr_kernarg_segment_ptr 1
		.amdhsa_user_sgpr_dispatch_id 0
		.amdhsa_user_sgpr_kernarg_preload_length 0
		.amdhsa_user_sgpr_kernarg_preload_offset 0
		.amdhsa_user_sgpr_private_segment_size 0
		.amdhsa_wavefront_size32 1
		.amdhsa_uses_dynamic_stack 0
		.amdhsa_enable_private_segment 0
		.amdhsa_system_sgpr_workgroup_id_x 1
		.amdhsa_system_sgpr_workgroup_id_y 0
		.amdhsa_system_sgpr_workgroup_id_z 0
		.amdhsa_system_sgpr_workgroup_info 0
		.amdhsa_system_vgpr_workitem_id 0
		.amdhsa_next_free_vgpr 8
		.amdhsa_next_free_sgpr 7
		.amdhsa_named_barrier_count 0
		.amdhsa_reserve_vcc 0
		.amdhsa_float_round_mode_32 0
		.amdhsa_float_round_mode_16_64 0
		.amdhsa_float_denorm_mode_32 3
		.amdhsa_float_denorm_mode_16_64 3
		.amdhsa_fp16_overflow 0
		.amdhsa_memory_ordered 1
		.amdhsa_forward_progress 1
		.amdhsa_inst_pref_size 33
		.amdhsa_round_robin_scheduling 0
		.amdhsa_exception_fp_ieee_invalid_op 0
		.amdhsa_exception_fp_denorm_src 0
		.amdhsa_exception_fp_ieee_div_zero 0
		.amdhsa_exception_fp_ieee_overflow 0
		.amdhsa_exception_fp_ieee_underflow 0
		.amdhsa_exception_fp_ieee_inexact 0
		.amdhsa_exception_int_div_zero 0
	.end_amdhsa_kernel
	.section	.text._Z19shuffle_down_kernelILj32ELj128EfEvPT1_S1_,"axG",@progbits,_Z19shuffle_down_kernelILj32ELj128EfEvPT1_S1_,comdat
.Lfunc_end53:
	.size	_Z19shuffle_down_kernelILj32ELj128EfEvPT1_S1_, .Lfunc_end53-_Z19shuffle_down_kernelILj32ELj128EfEvPT1_S1_
                                        ; -- End function
	.set _Z19shuffle_down_kernelILj32ELj128EfEvPT1_S1_.num_vgpr, 8
	.set _Z19shuffle_down_kernelILj32ELj128EfEvPT1_S1_.num_agpr, 0
	.set _Z19shuffle_down_kernelILj32ELj128EfEvPT1_S1_.numbered_sgpr, 7
	.set _Z19shuffle_down_kernelILj32ELj128EfEvPT1_S1_.num_named_barrier, 0
	.set _Z19shuffle_down_kernelILj32ELj128EfEvPT1_S1_.private_seg_size, 0
	.set _Z19shuffle_down_kernelILj32ELj128EfEvPT1_S1_.uses_vcc, 0
	.set _Z19shuffle_down_kernelILj32ELj128EfEvPT1_S1_.uses_flat_scratch, 0
	.set _Z19shuffle_down_kernelILj32ELj128EfEvPT1_S1_.has_dyn_sized_stack, 0
	.set _Z19shuffle_down_kernelILj32ELj128EfEvPT1_S1_.has_recursion, 0
	.set _Z19shuffle_down_kernelILj32ELj128EfEvPT1_S1_.has_indirect_call, 0
	.section	.AMDGPU.csdata,"",@progbits
; Kernel info:
; codeLenInByte = 4216
; TotalNumSgprs: 7
; NumVgprs: 8
; ScratchSize: 0
; MemoryBound: 1
; FloatMode: 240
; IeeeMode: 1
; LDSByteSize: 128 bytes/workgroup (compile time only)
; SGPRBlocks: 0
; VGPRBlocks: 0
; NumSGPRsForWavesPerEU: 7
; NumVGPRsForWavesPerEU: 8
; NamedBarCnt: 0
; Occupancy: 16
; WaveLimiterHint : 1
; COMPUTE_PGM_RSRC2:SCRATCH_EN: 0
; COMPUTE_PGM_RSRC2:USER_SGPR: 2
; COMPUTE_PGM_RSRC2:TRAP_HANDLER: 0
; COMPUTE_PGM_RSRC2:TGID_X_EN: 1
; COMPUTE_PGM_RSRC2:TGID_Y_EN: 0
; COMPUTE_PGM_RSRC2:TGID_Z_EN: 0
; COMPUTE_PGM_RSRC2:TIDIG_COMP_CNT: 0
	.section	.text._Z19shuffle_down_kernelILj377ELj128ElEvPT1_S1_,"axG",@progbits,_Z19shuffle_down_kernelILj377ELj128ElEvPT1_S1_,comdat
	.protected	_Z19shuffle_down_kernelILj377ELj128ElEvPT1_S1_ ; -- Begin function _Z19shuffle_down_kernelILj377ELj128ElEvPT1_S1_
	.globl	_Z19shuffle_down_kernelILj377ELj128ElEvPT1_S1_
	.p2align	8
	.type	_Z19shuffle_down_kernelILj377ELj128ElEvPT1_S1_,@function
_Z19shuffle_down_kernelILj377ELj128ElEvPT1_S1_: ; @_Z19shuffle_down_kernelILj377ELj128ElEvPT1_S1_
; %bb.0:
	s_bfe_u32 s4, ttmp6, 0x4000c
	s_and_b32 s5, ttmp6, 15
	s_add_co_i32 s4, s4, 1
	s_load_b128 s[0:3], s[0:1], 0x0
	s_mul_i32 s4, ttmp9, s4
	s_getreg_b32 s6, hwreg(HW_REG_IB_STS2, 6, 4)
	s_add_co_i32 s5, s5, s4
	s_cmp_eq_u32 s6, 0
	v_dual_mov_b32 v9, 0 :: v_dual_lshlrev_b32 v1, 3, v0
	s_cselect_b32 s4, ttmp9, s5
	s_delay_alu instid0(SALU_CYCLE_1) | instskip(NEXT) | instid1(SALU_CYCLE_1)
	s_mulk_i32 s4, 0x179
	v_add_lshl_u32 v8, s4, v0, 7
	s_delay_alu instid0(VALU_DEP_1) | instskip(SKIP_1) | instid1(VALU_DEP_1)
	v_lshlrev_b64_e32 v[2:3], 3, v[8:9]
	s_wait_kmcnt 0x0
	v_add_nc_u64_e32 v[4:5], s[0:1], v[2:3]
	global_load_b128 v[4:7], v[4:5], off
	s_wait_loadcnt 0x0
	s_clause 0x1
	global_store_b64 v8, v[6:7], s[2:3] scale_offset
	global_load_b64 v[6:7], v8, s[0:1] offset:16 scale_offset
	ds_store_b64 v1, v[4:5]
	s_wait_loadcnt 0x0
	s_clause 0x1
	global_store_b64 v8, v[6:7], s[2:3] offset:8 scale_offset
	global_load_b64 v[6:7], v8, s[0:1] offset:24 scale_offset
	s_wait_loadcnt 0x0
	s_clause 0x1
	global_store_b64 v8, v[6:7], s[2:3] offset:16 scale_offset
	global_load_b64 v[6:7], v8, s[0:1] offset:32 scale_offset
	s_wait_loadcnt 0x0
	s_clause 0x1
	global_store_b64 v8, v[6:7], s[2:3] offset:24 scale_offset
	global_load_b64 v[6:7], v8, s[0:1] offset:40 scale_offset
	s_wait_loadcnt 0x0
	s_clause 0x1
	global_store_b64 v8, v[6:7], s[2:3] offset:32 scale_offset
	global_load_b64 v[6:7], v8, s[0:1] offset:48 scale_offset
	s_wait_loadcnt 0x0
	s_clause 0x1
	global_store_b64 v8, v[6:7], s[2:3] offset:40 scale_offset
	global_load_b64 v[6:7], v8, s[0:1] offset:56 scale_offset
	s_wait_loadcnt 0x0
	s_clause 0x1
	global_store_b64 v8, v[6:7], s[2:3] offset:48 scale_offset
	global_load_b64 v[6:7], v8, s[0:1] offset:64 scale_offset
	s_wait_loadcnt 0x0
	s_clause 0x1
	global_store_b64 v8, v[6:7], s[2:3] offset:56 scale_offset
	global_load_b64 v[6:7], v8, s[0:1] offset:72 scale_offset
	s_wait_loadcnt 0x0
	s_clause 0x1
	global_store_b64 v8, v[6:7], s[2:3] offset:64 scale_offset
	global_load_b64 v[6:7], v8, s[0:1] offset:80 scale_offset
	s_wait_loadcnt 0x0
	s_clause 0x1
	global_store_b64 v8, v[6:7], s[2:3] offset:72 scale_offset
	global_load_b64 v[6:7], v8, s[0:1] offset:88 scale_offset
	s_wait_loadcnt 0x0
	s_clause 0x1
	global_store_b64 v8, v[6:7], s[2:3] offset:80 scale_offset
	global_load_b64 v[6:7], v8, s[0:1] offset:96 scale_offset
	s_wait_loadcnt 0x0
	s_clause 0x1
	global_store_b64 v8, v[6:7], s[2:3] offset:88 scale_offset
	global_load_b64 v[6:7], v8, s[0:1] offset:104 scale_offset
	s_wait_loadcnt 0x0
	s_clause 0x1
	global_store_b64 v8, v[6:7], s[2:3] offset:96 scale_offset
	global_load_b64 v[6:7], v8, s[0:1] offset:112 scale_offset
	s_wait_loadcnt 0x0
	s_clause 0x1
	global_store_b64 v8, v[6:7], s[2:3] offset:104 scale_offset
	global_load_b64 v[6:7], v8, s[0:1] offset:120 scale_offset
	s_wait_loadcnt 0x0
	s_clause 0x1
	global_store_b64 v8, v[6:7], s[2:3] offset:112 scale_offset
	global_load_b64 v[6:7], v8, s[0:1] offset:128 scale_offset
	s_wait_loadcnt 0x0
	s_clause 0x1
	global_store_b64 v8, v[6:7], s[2:3] offset:120 scale_offset
	global_load_b64 v[6:7], v8, s[0:1] offset:136 scale_offset
	s_wait_loadcnt 0x0
	s_clause 0x1
	global_store_b64 v8, v[6:7], s[2:3] offset:128 scale_offset
	global_load_b64 v[6:7], v8, s[0:1] offset:144 scale_offset
	s_wait_loadcnt 0x0
	s_clause 0x1
	global_store_b64 v8, v[6:7], s[2:3] offset:136 scale_offset
	global_load_b64 v[6:7], v8, s[0:1] offset:152 scale_offset
	s_wait_loadcnt 0x0
	s_clause 0x1
	global_store_b64 v8, v[6:7], s[2:3] offset:144 scale_offset
	global_load_b64 v[6:7], v8, s[0:1] offset:160 scale_offset
	s_wait_loadcnt 0x0
	s_clause 0x1
	global_store_b64 v8, v[6:7], s[2:3] offset:152 scale_offset
	global_load_b64 v[6:7], v8, s[0:1] offset:168 scale_offset
	s_wait_loadcnt 0x0
	s_clause 0x1
	global_store_b64 v8, v[6:7], s[2:3] offset:160 scale_offset
	global_load_b64 v[6:7], v8, s[0:1] offset:176 scale_offset
	s_wait_loadcnt 0x0
	s_clause 0x1
	global_store_b64 v8, v[6:7], s[2:3] offset:168 scale_offset
	global_load_b64 v[6:7], v8, s[0:1] offset:184 scale_offset
	s_wait_loadcnt 0x0
	s_clause 0x1
	global_store_b64 v8, v[6:7], s[2:3] offset:176 scale_offset
	global_load_b64 v[6:7], v8, s[0:1] offset:192 scale_offset
	s_wait_loadcnt 0x0
	s_clause 0x1
	global_store_b64 v8, v[6:7], s[2:3] offset:184 scale_offset
	global_load_b64 v[6:7], v8, s[0:1] offset:200 scale_offset
	s_wait_loadcnt 0x0
	s_clause 0x1
	global_store_b64 v8, v[6:7], s[2:3] offset:192 scale_offset
	global_load_b64 v[6:7], v8, s[0:1] offset:208 scale_offset
	s_wait_loadcnt 0x0
	s_clause 0x1
	global_store_b64 v8, v[6:7], s[2:3] offset:200 scale_offset
	global_load_b64 v[6:7], v8, s[0:1] offset:216 scale_offset
	s_wait_loadcnt 0x0
	s_clause 0x1
	global_store_b64 v8, v[6:7], s[2:3] offset:208 scale_offset
	global_load_b64 v[6:7], v8, s[0:1] offset:224 scale_offset
	s_wait_loadcnt 0x0
	s_clause 0x1
	global_store_b64 v8, v[6:7], s[2:3] offset:216 scale_offset
	global_load_b64 v[6:7], v8, s[0:1] offset:232 scale_offset
	s_wait_loadcnt 0x0
	s_clause 0x1
	global_store_b64 v8, v[6:7], s[2:3] offset:224 scale_offset
	global_load_b64 v[6:7], v8, s[0:1] offset:240 scale_offset
	s_wait_loadcnt 0x0
	s_clause 0x1
	global_store_b64 v8, v[6:7], s[2:3] offset:232 scale_offset
	global_load_b64 v[6:7], v8, s[0:1] offset:248 scale_offset
	s_wait_loadcnt 0x0
	s_clause 0x1
	global_store_b64 v8, v[6:7], s[2:3] offset:240 scale_offset
	global_load_b64 v[6:7], v8, s[0:1] offset:256 scale_offset
	s_wait_loadcnt 0x0
	s_clause 0x1
	global_store_b64 v8, v[6:7], s[2:3] offset:248 scale_offset
	global_load_b64 v[6:7], v8, s[0:1] offset:264 scale_offset
	s_wait_loadcnt 0x0
	s_clause 0x1
	global_store_b64 v8, v[6:7], s[2:3] offset:256 scale_offset
	global_load_b64 v[6:7], v8, s[0:1] offset:272 scale_offset
	s_wait_loadcnt 0x0
	s_clause 0x1
	global_store_b64 v8, v[6:7], s[2:3] offset:264 scale_offset
	global_load_b64 v[6:7], v8, s[0:1] offset:280 scale_offset
	s_wait_loadcnt 0x0
	s_clause 0x1
	global_store_b64 v8, v[6:7], s[2:3] offset:272 scale_offset
	global_load_b64 v[6:7], v8, s[0:1] offset:288 scale_offset
	s_wait_loadcnt 0x0
	s_clause 0x1
	global_store_b64 v8, v[6:7], s[2:3] offset:280 scale_offset
	global_load_b64 v[6:7], v8, s[0:1] offset:296 scale_offset
	s_wait_loadcnt 0x0
	s_clause 0x1
	global_store_b64 v8, v[6:7], s[2:3] offset:288 scale_offset
	global_load_b64 v[6:7], v8, s[0:1] offset:304 scale_offset
	s_wait_loadcnt 0x0
	s_clause 0x1
	global_store_b64 v8, v[6:7], s[2:3] offset:296 scale_offset
	global_load_b64 v[6:7], v8, s[0:1] offset:312 scale_offset
	s_wait_loadcnt 0x0
	s_clause 0x1
	global_store_b64 v8, v[6:7], s[2:3] offset:304 scale_offset
	global_load_b64 v[6:7], v8, s[0:1] offset:320 scale_offset
	s_wait_loadcnt 0x0
	s_clause 0x1
	global_store_b64 v8, v[6:7], s[2:3] offset:312 scale_offset
	global_load_b64 v[6:7], v8, s[0:1] offset:328 scale_offset
	s_wait_loadcnt 0x0
	s_clause 0x1
	global_store_b64 v8, v[6:7], s[2:3] offset:320 scale_offset
	global_load_b64 v[6:7], v8, s[0:1] offset:336 scale_offset
	s_wait_loadcnt 0x0
	s_clause 0x1
	global_store_b64 v8, v[6:7], s[2:3] offset:328 scale_offset
	global_load_b64 v[6:7], v8, s[0:1] offset:344 scale_offset
	s_wait_loadcnt 0x0
	s_clause 0x1
	global_store_b64 v8, v[6:7], s[2:3] offset:336 scale_offset
	global_load_b64 v[6:7], v8, s[0:1] offset:352 scale_offset
	s_wait_loadcnt 0x0
	s_clause 0x1
	global_store_b64 v8, v[6:7], s[2:3] offset:344 scale_offset
	global_load_b64 v[6:7], v8, s[0:1] offset:360 scale_offset
	s_wait_loadcnt 0x0
	s_clause 0x1
	global_store_b64 v8, v[6:7], s[2:3] offset:352 scale_offset
	global_load_b64 v[6:7], v8, s[0:1] offset:368 scale_offset
	s_wait_loadcnt 0x0
	s_clause 0x1
	global_store_b64 v8, v[6:7], s[2:3] offset:360 scale_offset
	global_load_b64 v[6:7], v8, s[0:1] offset:376 scale_offset
	s_wait_loadcnt 0x0
	s_clause 0x1
	global_store_b64 v8, v[6:7], s[2:3] offset:368 scale_offset
	global_load_b64 v[6:7], v8, s[0:1] offset:384 scale_offset
	s_wait_loadcnt 0x0
	s_clause 0x1
	global_store_b64 v8, v[6:7], s[2:3] offset:376 scale_offset
	global_load_b64 v[6:7], v8, s[0:1] offset:392 scale_offset
	s_wait_loadcnt 0x0
	s_clause 0x1
	global_store_b64 v8, v[6:7], s[2:3] offset:384 scale_offset
	global_load_b64 v[6:7], v8, s[0:1] offset:400 scale_offset
	s_wait_loadcnt 0x0
	s_clause 0x1
	global_store_b64 v8, v[6:7], s[2:3] offset:392 scale_offset
	global_load_b64 v[6:7], v8, s[0:1] offset:408 scale_offset
	s_wait_loadcnt 0x0
	s_clause 0x1
	global_store_b64 v8, v[6:7], s[2:3] offset:400 scale_offset
	global_load_b64 v[6:7], v8, s[0:1] offset:416 scale_offset
	s_wait_loadcnt 0x0
	s_clause 0x1
	global_store_b64 v8, v[6:7], s[2:3] offset:408 scale_offset
	global_load_b64 v[6:7], v8, s[0:1] offset:424 scale_offset
	s_wait_loadcnt 0x0
	s_clause 0x1
	global_store_b64 v8, v[6:7], s[2:3] offset:416 scale_offset
	global_load_b64 v[6:7], v8, s[0:1] offset:432 scale_offset
	s_wait_loadcnt 0x0
	s_clause 0x1
	global_store_b64 v8, v[6:7], s[2:3] offset:424 scale_offset
	global_load_b64 v[6:7], v8, s[0:1] offset:440 scale_offset
	s_wait_loadcnt 0x0
	s_clause 0x1
	global_store_b64 v8, v[6:7], s[2:3] offset:432 scale_offset
	global_load_b64 v[6:7], v8, s[0:1] offset:448 scale_offset
	s_wait_loadcnt 0x0
	s_clause 0x1
	global_store_b64 v8, v[6:7], s[2:3] offset:440 scale_offset
	global_load_b64 v[6:7], v8, s[0:1] offset:456 scale_offset
	s_wait_loadcnt 0x0
	s_clause 0x1
	global_store_b64 v8, v[6:7], s[2:3] offset:448 scale_offset
	global_load_b64 v[6:7], v8, s[0:1] offset:464 scale_offset
	s_wait_loadcnt 0x0
	s_clause 0x1
	global_store_b64 v8, v[6:7], s[2:3] offset:456 scale_offset
	global_load_b64 v[6:7], v8, s[0:1] offset:472 scale_offset
	s_wait_loadcnt 0x0
	s_clause 0x1
	global_store_b64 v8, v[6:7], s[2:3] offset:464 scale_offset
	global_load_b64 v[6:7], v8, s[0:1] offset:480 scale_offset
	s_wait_loadcnt 0x0
	s_clause 0x1
	global_store_b64 v8, v[6:7], s[2:3] offset:472 scale_offset
	global_load_b64 v[6:7], v8, s[0:1] offset:488 scale_offset
	s_wait_loadcnt 0x0
	s_clause 0x1
	global_store_b64 v8, v[6:7], s[2:3] offset:480 scale_offset
	global_load_b64 v[6:7], v8, s[0:1] offset:496 scale_offset
	s_wait_loadcnt 0x0
	s_clause 0x1
	global_store_b64 v8, v[6:7], s[2:3] offset:488 scale_offset
	global_load_b64 v[6:7], v8, s[0:1] offset:504 scale_offset
	s_wait_loadcnt 0x0
	s_clause 0x1
	global_store_b64 v8, v[6:7], s[2:3] offset:496 scale_offset
	global_load_b64 v[6:7], v8, s[0:1] offset:512 scale_offset
	s_wait_loadcnt 0x0
	s_clause 0x1
	global_store_b64 v8, v[6:7], s[2:3] offset:504 scale_offset
	global_load_b64 v[6:7], v8, s[0:1] offset:520 scale_offset
	s_wait_loadcnt 0x0
	s_clause 0x1
	global_store_b64 v8, v[6:7], s[2:3] offset:512 scale_offset
	global_load_b64 v[6:7], v8, s[0:1] offset:528 scale_offset
	s_wait_loadcnt 0x0
	s_clause 0x1
	global_store_b64 v8, v[6:7], s[2:3] offset:520 scale_offset
	global_load_b64 v[6:7], v8, s[0:1] offset:536 scale_offset
	s_wait_loadcnt 0x0
	s_clause 0x1
	global_store_b64 v8, v[6:7], s[2:3] offset:528 scale_offset
	global_load_b64 v[6:7], v8, s[0:1] offset:544 scale_offset
	s_wait_loadcnt 0x0
	s_clause 0x1
	global_store_b64 v8, v[6:7], s[2:3] offset:536 scale_offset
	global_load_b64 v[6:7], v8, s[0:1] offset:552 scale_offset
	s_wait_loadcnt 0x0
	s_clause 0x1
	global_store_b64 v8, v[6:7], s[2:3] offset:544 scale_offset
	global_load_b64 v[6:7], v8, s[0:1] offset:560 scale_offset
	s_wait_loadcnt 0x0
	s_clause 0x1
	global_store_b64 v8, v[6:7], s[2:3] offset:552 scale_offset
	global_load_b64 v[6:7], v8, s[0:1] offset:568 scale_offset
	s_wait_loadcnt 0x0
	s_clause 0x1
	global_store_b64 v8, v[6:7], s[2:3] offset:560 scale_offset
	global_load_b64 v[6:7], v8, s[0:1] offset:576 scale_offset
	s_wait_loadcnt 0x0
	s_clause 0x1
	global_store_b64 v8, v[6:7], s[2:3] offset:568 scale_offset
	global_load_b64 v[6:7], v8, s[0:1] offset:584 scale_offset
	s_wait_loadcnt 0x0
	s_clause 0x1
	global_store_b64 v8, v[6:7], s[2:3] offset:576 scale_offset
	global_load_b64 v[6:7], v8, s[0:1] offset:592 scale_offset
	s_wait_loadcnt 0x0
	s_clause 0x1
	global_store_b64 v8, v[6:7], s[2:3] offset:584 scale_offset
	global_load_b64 v[6:7], v8, s[0:1] offset:600 scale_offset
	s_wait_loadcnt 0x0
	s_clause 0x1
	global_store_b64 v8, v[6:7], s[2:3] offset:592 scale_offset
	global_load_b64 v[6:7], v8, s[0:1] offset:608 scale_offset
	s_wait_loadcnt 0x0
	s_clause 0x1
	global_store_b64 v8, v[6:7], s[2:3] offset:600 scale_offset
	global_load_b64 v[6:7], v8, s[0:1] offset:616 scale_offset
	s_wait_loadcnt 0x0
	s_clause 0x1
	global_store_b64 v8, v[6:7], s[2:3] offset:608 scale_offset
	global_load_b64 v[6:7], v8, s[0:1] offset:624 scale_offset
	s_wait_loadcnt 0x0
	s_clause 0x1
	global_store_b64 v8, v[6:7], s[2:3] offset:616 scale_offset
	global_load_b64 v[6:7], v8, s[0:1] offset:632 scale_offset
	s_wait_loadcnt 0x0
	s_clause 0x1
	global_store_b64 v8, v[6:7], s[2:3] offset:624 scale_offset
	global_load_b64 v[6:7], v8, s[0:1] offset:640 scale_offset
	s_wait_loadcnt 0x0
	s_clause 0x1
	global_store_b64 v8, v[6:7], s[2:3] offset:632 scale_offset
	global_load_b64 v[6:7], v8, s[0:1] offset:648 scale_offset
	s_wait_loadcnt 0x0
	s_clause 0x1
	global_store_b64 v8, v[6:7], s[2:3] offset:640 scale_offset
	global_load_b64 v[6:7], v8, s[0:1] offset:656 scale_offset
	s_wait_loadcnt 0x0
	s_clause 0x1
	global_store_b64 v8, v[6:7], s[2:3] offset:648 scale_offset
	global_load_b64 v[6:7], v8, s[0:1] offset:664 scale_offset
	s_wait_loadcnt 0x0
	s_clause 0x1
	global_store_b64 v8, v[6:7], s[2:3] offset:656 scale_offset
	global_load_b64 v[6:7], v8, s[0:1] offset:672 scale_offset
	s_wait_loadcnt 0x0
	s_clause 0x1
	global_store_b64 v8, v[6:7], s[2:3] offset:664 scale_offset
	global_load_b64 v[6:7], v8, s[0:1] offset:680 scale_offset
	s_wait_loadcnt 0x0
	s_clause 0x1
	global_store_b64 v8, v[6:7], s[2:3] offset:672 scale_offset
	global_load_b64 v[6:7], v8, s[0:1] offset:688 scale_offset
	s_wait_loadcnt 0x0
	s_clause 0x1
	global_store_b64 v8, v[6:7], s[2:3] offset:680 scale_offset
	global_load_b64 v[6:7], v8, s[0:1] offset:696 scale_offset
	s_wait_loadcnt 0x0
	s_clause 0x1
	global_store_b64 v8, v[6:7], s[2:3] offset:688 scale_offset
	global_load_b64 v[6:7], v8, s[0:1] offset:704 scale_offset
	s_wait_loadcnt 0x0
	s_clause 0x1
	global_store_b64 v8, v[6:7], s[2:3] offset:696 scale_offset
	global_load_b64 v[6:7], v8, s[0:1] offset:712 scale_offset
	s_wait_loadcnt 0x0
	s_clause 0x1
	global_store_b64 v8, v[6:7], s[2:3] offset:704 scale_offset
	global_load_b64 v[6:7], v8, s[0:1] offset:720 scale_offset
	s_wait_loadcnt 0x0
	s_clause 0x1
	global_store_b64 v8, v[6:7], s[2:3] offset:712 scale_offset
	global_load_b64 v[6:7], v8, s[0:1] offset:728 scale_offset
	s_wait_loadcnt 0x0
	s_clause 0x1
	global_store_b64 v8, v[6:7], s[2:3] offset:720 scale_offset
	global_load_b64 v[6:7], v8, s[0:1] offset:736 scale_offset
	s_wait_loadcnt 0x0
	s_clause 0x1
	global_store_b64 v8, v[6:7], s[2:3] offset:728 scale_offset
	global_load_b64 v[6:7], v8, s[0:1] offset:744 scale_offset
	s_wait_loadcnt 0x0
	s_clause 0x1
	global_store_b64 v8, v[6:7], s[2:3] offset:736 scale_offset
	global_load_b64 v[6:7], v8, s[0:1] offset:752 scale_offset
	s_wait_loadcnt 0x0
	s_clause 0x1
	global_store_b64 v8, v[6:7], s[2:3] offset:744 scale_offset
	global_load_b64 v[6:7], v8, s[0:1] offset:760 scale_offset
	s_wait_loadcnt 0x0
	s_clause 0x1
	global_store_b64 v8, v[6:7], s[2:3] offset:752 scale_offset
	global_load_b64 v[6:7], v8, s[0:1] offset:768 scale_offset
	s_wait_loadcnt 0x0
	s_clause 0x1
	global_store_b64 v8, v[6:7], s[2:3] offset:760 scale_offset
	global_load_b64 v[6:7], v8, s[0:1] offset:776 scale_offset
	s_wait_loadcnt 0x0
	s_clause 0x1
	global_store_b64 v8, v[6:7], s[2:3] offset:768 scale_offset
	global_load_b64 v[6:7], v8, s[0:1] offset:784 scale_offset
	s_wait_loadcnt 0x0
	s_clause 0x1
	global_store_b64 v8, v[6:7], s[2:3] offset:776 scale_offset
	global_load_b64 v[6:7], v8, s[0:1] offset:792 scale_offset
	s_wait_loadcnt 0x0
	s_clause 0x1
	global_store_b64 v8, v[6:7], s[2:3] offset:784 scale_offset
	global_load_b64 v[6:7], v8, s[0:1] offset:800 scale_offset
	s_wait_loadcnt 0x0
	s_clause 0x1
	global_store_b64 v8, v[6:7], s[2:3] offset:792 scale_offset
	global_load_b64 v[6:7], v8, s[0:1] offset:808 scale_offset
	s_wait_loadcnt 0x0
	s_clause 0x1
	global_store_b64 v8, v[6:7], s[2:3] offset:800 scale_offset
	global_load_b64 v[6:7], v8, s[0:1] offset:816 scale_offset
	s_wait_loadcnt 0x0
	s_clause 0x1
	global_store_b64 v8, v[6:7], s[2:3] offset:808 scale_offset
	global_load_b64 v[6:7], v8, s[0:1] offset:824 scale_offset
	s_wait_loadcnt 0x0
	s_clause 0x1
	global_store_b64 v8, v[6:7], s[2:3] offset:816 scale_offset
	global_load_b64 v[6:7], v8, s[0:1] offset:832 scale_offset
	s_wait_loadcnt 0x0
	s_clause 0x1
	global_store_b64 v8, v[6:7], s[2:3] offset:824 scale_offset
	global_load_b64 v[6:7], v8, s[0:1] offset:840 scale_offset
	s_wait_loadcnt 0x0
	s_clause 0x1
	global_store_b64 v8, v[6:7], s[2:3] offset:832 scale_offset
	global_load_b64 v[6:7], v8, s[0:1] offset:848 scale_offset
	s_wait_loadcnt 0x0
	s_clause 0x1
	global_store_b64 v8, v[6:7], s[2:3] offset:840 scale_offset
	global_load_b64 v[6:7], v8, s[0:1] offset:856 scale_offset
	s_wait_loadcnt 0x0
	s_clause 0x1
	global_store_b64 v8, v[6:7], s[2:3] offset:848 scale_offset
	global_load_b64 v[6:7], v8, s[0:1] offset:864 scale_offset
	s_wait_loadcnt 0x0
	s_clause 0x1
	global_store_b64 v8, v[6:7], s[2:3] offset:856 scale_offset
	global_load_b64 v[6:7], v8, s[0:1] offset:872 scale_offset
	s_wait_loadcnt 0x0
	s_clause 0x1
	global_store_b64 v8, v[6:7], s[2:3] offset:864 scale_offset
	global_load_b64 v[6:7], v8, s[0:1] offset:880 scale_offset
	s_wait_loadcnt 0x0
	s_clause 0x1
	global_store_b64 v8, v[6:7], s[2:3] offset:872 scale_offset
	global_load_b64 v[6:7], v8, s[0:1] offset:888 scale_offset
	s_wait_loadcnt 0x0
	s_clause 0x1
	global_store_b64 v8, v[6:7], s[2:3] offset:880 scale_offset
	global_load_b64 v[6:7], v8, s[0:1] offset:896 scale_offset
	s_wait_loadcnt 0x0
	s_clause 0x1
	global_store_b64 v8, v[6:7], s[2:3] offset:888 scale_offset
	global_load_b64 v[6:7], v8, s[0:1] offset:904 scale_offset
	s_wait_loadcnt 0x0
	s_clause 0x1
	global_store_b64 v8, v[6:7], s[2:3] offset:896 scale_offset
	global_load_b64 v[6:7], v8, s[0:1] offset:912 scale_offset
	s_wait_loadcnt 0x0
	s_clause 0x1
	global_store_b64 v8, v[6:7], s[2:3] offset:904 scale_offset
	global_load_b64 v[6:7], v8, s[0:1] offset:920 scale_offset
	s_wait_loadcnt 0x0
	s_clause 0x1
	global_store_b64 v8, v[6:7], s[2:3] offset:912 scale_offset
	global_load_b64 v[6:7], v8, s[0:1] offset:928 scale_offset
	s_wait_loadcnt 0x0
	s_clause 0x1
	global_store_b64 v8, v[6:7], s[2:3] offset:920 scale_offset
	global_load_b64 v[6:7], v8, s[0:1] offset:936 scale_offset
	s_wait_loadcnt 0x0
	s_clause 0x1
	global_store_b64 v8, v[6:7], s[2:3] offset:928 scale_offset
	global_load_b64 v[6:7], v8, s[0:1] offset:944 scale_offset
	s_wait_loadcnt 0x0
	s_clause 0x1
	global_store_b64 v8, v[6:7], s[2:3] offset:936 scale_offset
	global_load_b64 v[6:7], v8, s[0:1] offset:952 scale_offset
	s_wait_loadcnt 0x0
	s_clause 0x1
	global_store_b64 v8, v[6:7], s[2:3] offset:944 scale_offset
	global_load_b64 v[6:7], v8, s[0:1] offset:960 scale_offset
	s_wait_loadcnt 0x0
	s_clause 0x1
	global_store_b64 v8, v[6:7], s[2:3] offset:952 scale_offset
	global_load_b64 v[6:7], v8, s[0:1] offset:968 scale_offset
	s_wait_loadcnt 0x0
	s_clause 0x1
	global_store_b64 v8, v[6:7], s[2:3] offset:960 scale_offset
	global_load_b64 v[6:7], v8, s[0:1] offset:976 scale_offset
	s_wait_loadcnt 0x0
	s_clause 0x1
	global_store_b64 v8, v[6:7], s[2:3] offset:968 scale_offset
	global_load_b64 v[6:7], v8, s[0:1] offset:984 scale_offset
	s_wait_loadcnt 0x0
	s_clause 0x1
	global_store_b64 v8, v[6:7], s[2:3] offset:976 scale_offset
	global_load_b64 v[6:7], v8, s[0:1] offset:992 scale_offset
	s_wait_loadcnt 0x0
	s_clause 0x1
	global_store_b64 v8, v[6:7], s[2:3] offset:984 scale_offset
	global_load_b64 v[6:7], v8, s[0:1] offset:1000 scale_offset
	s_wait_loadcnt 0x0
	s_clause 0x1
	global_store_b64 v8, v[6:7], s[2:3] offset:992 scale_offset
	global_load_b64 v[6:7], v8, s[0:1] offset:1008 scale_offset
	s_wait_loadcnt 0x0
	s_clause 0x1
	global_store_b64 v8, v[6:7], s[2:3] offset:1000 scale_offset
	global_load_b64 v[6:7], v8, s[0:1] offset:1016 scale_offset
	s_wait_xcnt 0x0
	s_mov_b32 s0, exec_lo
	s_wait_loadcnt 0x0
	global_store_b64 v8, v[6:7], s[2:3] offset:1008 scale_offset
	s_wait_storecnt_dscnt 0x0
	s_barrier_signal -1
	s_barrier_wait -1
	s_wait_xcnt 0x0
	v_cmpx_gt_u32_e32 0x178, v0
	s_cbranch_execz .LBB54_2
; %bb.1:
	ds_load_b64 v[0:1], v1 offset:8
	v_add_nc_u64_e32 v[2:3], s[2:3], v[2:3]
	s_wait_dscnt 0x0
	global_store_b64 v[2:3], v[0:1], off offset:1016
.LBB54_2:
	s_endpgm
	.section	.rodata,"a",@progbits
	.p2align	6, 0x0
	.amdhsa_kernel _Z19shuffle_down_kernelILj377ELj128ElEvPT1_S1_
		.amdhsa_group_segment_fixed_size 3016
		.amdhsa_private_segment_fixed_size 0
		.amdhsa_kernarg_size 16
		.amdhsa_user_sgpr_count 2
		.amdhsa_user_sgpr_dispatch_ptr 0
		.amdhsa_user_sgpr_queue_ptr 0
		.amdhsa_user_sgpr_kernarg_segment_ptr 1
		.amdhsa_user_sgpr_dispatch_id 0
		.amdhsa_user_sgpr_kernarg_preload_length 0
		.amdhsa_user_sgpr_kernarg_preload_offset 0
		.amdhsa_user_sgpr_private_segment_size 0
		.amdhsa_wavefront_size32 1
		.amdhsa_uses_dynamic_stack 0
		.amdhsa_enable_private_segment 0
		.amdhsa_system_sgpr_workgroup_id_x 1
		.amdhsa_system_sgpr_workgroup_id_y 0
		.amdhsa_system_sgpr_workgroup_id_z 0
		.amdhsa_system_sgpr_workgroup_info 0
		.amdhsa_system_vgpr_workitem_id 0
		.amdhsa_next_free_vgpr 10
		.amdhsa_next_free_sgpr 7
		.amdhsa_named_barrier_count 0
		.amdhsa_reserve_vcc 0
		.amdhsa_float_round_mode_32 0
		.amdhsa_float_round_mode_16_64 0
		.amdhsa_float_denorm_mode_32 3
		.amdhsa_float_denorm_mode_16_64 3
		.amdhsa_fp16_overflow 0
		.amdhsa_memory_ordered 1
		.amdhsa_forward_progress 1
		.amdhsa_inst_pref_size 33
		.amdhsa_round_robin_scheduling 0
		.amdhsa_exception_fp_ieee_invalid_op 0
		.amdhsa_exception_fp_denorm_src 0
		.amdhsa_exception_fp_ieee_div_zero 0
		.amdhsa_exception_fp_ieee_overflow 0
		.amdhsa_exception_fp_ieee_underflow 0
		.amdhsa_exception_fp_ieee_inexact 0
		.amdhsa_exception_int_div_zero 0
	.end_amdhsa_kernel
	.section	.text._Z19shuffle_down_kernelILj377ELj128ElEvPT1_S1_,"axG",@progbits,_Z19shuffle_down_kernelILj377ELj128ElEvPT1_S1_,comdat
.Lfunc_end54:
	.size	_Z19shuffle_down_kernelILj377ELj128ElEvPT1_S1_, .Lfunc_end54-_Z19shuffle_down_kernelILj377ELj128ElEvPT1_S1_
                                        ; -- End function
	.set _Z19shuffle_down_kernelILj377ELj128ElEvPT1_S1_.num_vgpr, 10
	.set _Z19shuffle_down_kernelILj377ELj128ElEvPT1_S1_.num_agpr, 0
	.set _Z19shuffle_down_kernelILj377ELj128ElEvPT1_S1_.numbered_sgpr, 7
	.set _Z19shuffle_down_kernelILj377ELj128ElEvPT1_S1_.num_named_barrier, 0
	.set _Z19shuffle_down_kernelILj377ELj128ElEvPT1_S1_.private_seg_size, 0
	.set _Z19shuffle_down_kernelILj377ELj128ElEvPT1_S1_.uses_vcc, 0
	.set _Z19shuffle_down_kernelILj377ELj128ElEvPT1_S1_.uses_flat_scratch, 0
	.set _Z19shuffle_down_kernelILj377ELj128ElEvPT1_S1_.has_dyn_sized_stack, 0
	.set _Z19shuffle_down_kernelILj377ELj128ElEvPT1_S1_.has_recursion, 0
	.set _Z19shuffle_down_kernelILj377ELj128ElEvPT1_S1_.has_indirect_call, 0
	.section	.AMDGPU.csdata,"",@progbits
; Kernel info:
; codeLenInByte = 4224
; TotalNumSgprs: 7
; NumVgprs: 10
; ScratchSize: 0
; MemoryBound: 1
; FloatMode: 240
; IeeeMode: 1
; LDSByteSize: 3016 bytes/workgroup (compile time only)
; SGPRBlocks: 0
; VGPRBlocks: 0
; NumSGPRsForWavesPerEU: 7
; NumVGPRsForWavesPerEU: 10
; NamedBarCnt: 0
; Occupancy: 16
; WaveLimiterHint : 1
; COMPUTE_PGM_RSRC2:SCRATCH_EN: 0
; COMPUTE_PGM_RSRC2:USER_SGPR: 2
; COMPUTE_PGM_RSRC2:TRAP_HANDLER: 0
; COMPUTE_PGM_RSRC2:TGID_X_EN: 1
; COMPUTE_PGM_RSRC2:TGID_Y_EN: 0
; COMPUTE_PGM_RSRC2:TGID_Z_EN: 0
; COMPUTE_PGM_RSRC2:TIDIG_COMP_CNT: 0
	.section	.text._Z19shuffle_down_kernelILj256ELj128ElEvPT1_S1_,"axG",@progbits,_Z19shuffle_down_kernelILj256ELj128ElEvPT1_S1_,comdat
	.protected	_Z19shuffle_down_kernelILj256ELj128ElEvPT1_S1_ ; -- Begin function _Z19shuffle_down_kernelILj256ELj128ElEvPT1_S1_
	.globl	_Z19shuffle_down_kernelILj256ELj128ElEvPT1_S1_
	.p2align	8
	.type	_Z19shuffle_down_kernelILj256ELj128ElEvPT1_S1_,@function
_Z19shuffle_down_kernelILj256ELj128ElEvPT1_S1_: ; @_Z19shuffle_down_kernelILj256ELj128ElEvPT1_S1_
; %bb.0:
	s_bfe_u32 s4, ttmp6, 0x4000c
	s_load_b128 s[0:3], s[0:1], 0x0
	s_add_co_i32 s4, s4, 1
	s_and_b32 s5, ttmp6, 15
	s_mul_i32 s4, ttmp9, s4
	s_getreg_b32 s6, hwreg(HW_REG_IB_STS2, 6, 4)
	v_dual_lshlrev_b32 v1, 7, v0 :: v_dual_mov_b32 v9, 0
	s_add_co_i32 s5, s5, s4
	s_cmp_eq_u32 s6, 0
	s_cselect_b32 s4, ttmp9, s5
	s_delay_alu instid0(VALU_DEP_1) | instid1(SALU_CYCLE_1)
	v_lshl_or_b32 v8, s4, 15, v1
	v_lshlrev_b32_e32 v1, 3, v0
	s_delay_alu instid0(VALU_DEP_2) | instskip(SKIP_1) | instid1(VALU_DEP_1)
	v_lshlrev_b64_e32 v[2:3], 3, v[8:9]
	s_wait_kmcnt 0x0
	v_add_nc_u64_e32 v[4:5], s[0:1], v[2:3]
	global_load_b128 v[4:7], v[4:5], off
	s_wait_loadcnt 0x0
	s_clause 0x1
	global_store_b64 v8, v[6:7], s[2:3] scale_offset
	global_load_b64 v[6:7], v8, s[0:1] offset:16 scale_offset
	ds_store_b64 v1, v[4:5]
	s_wait_loadcnt 0x0
	s_clause 0x1
	global_store_b64 v8, v[6:7], s[2:3] offset:8 scale_offset
	global_load_b64 v[6:7], v8, s[0:1] offset:24 scale_offset
	s_wait_loadcnt 0x0
	s_clause 0x1
	global_store_b64 v8, v[6:7], s[2:3] offset:16 scale_offset
	global_load_b64 v[6:7], v8, s[0:1] offset:32 scale_offset
	;; [unrolled: 4-line block ×125, first 2 shown]
	s_wait_xcnt 0x0
	s_mov_b32 s0, exec_lo
	s_wait_loadcnt 0x0
	global_store_b64 v8, v[6:7], s[2:3] offset:1008 scale_offset
	s_wait_storecnt_dscnt 0x0
	s_barrier_signal -1
	s_barrier_wait -1
	s_wait_xcnt 0x0
	v_cmpx_gt_u32_e32 0xff, v0
	s_cbranch_execz .LBB55_2
; %bb.1:
	ds_load_b64 v[0:1], v1 offset:8
	v_add_nc_u64_e32 v[2:3], s[2:3], v[2:3]
	s_wait_dscnt 0x0
	global_store_b64 v[2:3], v[0:1], off offset:1016
.LBB55_2:
	s_endpgm
	.section	.rodata,"a",@progbits
	.p2align	6, 0x0
	.amdhsa_kernel _Z19shuffle_down_kernelILj256ELj128ElEvPT1_S1_
		.amdhsa_group_segment_fixed_size 2048
		.amdhsa_private_segment_fixed_size 0
		.amdhsa_kernarg_size 16
		.amdhsa_user_sgpr_count 2
		.amdhsa_user_sgpr_dispatch_ptr 0
		.amdhsa_user_sgpr_queue_ptr 0
		.amdhsa_user_sgpr_kernarg_segment_ptr 1
		.amdhsa_user_sgpr_dispatch_id 0
		.amdhsa_user_sgpr_kernarg_preload_length 0
		.amdhsa_user_sgpr_kernarg_preload_offset 0
		.amdhsa_user_sgpr_private_segment_size 0
		.amdhsa_wavefront_size32 1
		.amdhsa_uses_dynamic_stack 0
		.amdhsa_enable_private_segment 0
		.amdhsa_system_sgpr_workgroup_id_x 1
		.amdhsa_system_sgpr_workgroup_id_y 0
		.amdhsa_system_sgpr_workgroup_id_z 0
		.amdhsa_system_sgpr_workgroup_info 0
		.amdhsa_system_vgpr_workitem_id 0
		.amdhsa_next_free_vgpr 10
		.amdhsa_next_free_sgpr 7
		.amdhsa_named_barrier_count 0
		.amdhsa_reserve_vcc 0
		.amdhsa_float_round_mode_32 0
		.amdhsa_float_round_mode_16_64 0
		.amdhsa_float_denorm_mode_32 3
		.amdhsa_float_denorm_mode_16_64 3
		.amdhsa_fp16_overflow 0
		.amdhsa_memory_ordered 1
		.amdhsa_forward_progress 1
		.amdhsa_inst_pref_size 33
		.amdhsa_round_robin_scheduling 0
		.amdhsa_exception_fp_ieee_invalid_op 0
		.amdhsa_exception_fp_denorm_src 0
		.amdhsa_exception_fp_ieee_div_zero 0
		.amdhsa_exception_fp_ieee_overflow 0
		.amdhsa_exception_fp_ieee_underflow 0
		.amdhsa_exception_fp_ieee_inexact 0
		.amdhsa_exception_int_div_zero 0
	.end_amdhsa_kernel
	.section	.text._Z19shuffle_down_kernelILj256ELj128ElEvPT1_S1_,"axG",@progbits,_Z19shuffle_down_kernelILj256ELj128ElEvPT1_S1_,comdat
.Lfunc_end55:
	.size	_Z19shuffle_down_kernelILj256ELj128ElEvPT1_S1_, .Lfunc_end55-_Z19shuffle_down_kernelILj256ELj128ElEvPT1_S1_
                                        ; -- End function
	.set _Z19shuffle_down_kernelILj256ELj128ElEvPT1_S1_.num_vgpr, 10
	.set _Z19shuffle_down_kernelILj256ELj128ElEvPT1_S1_.num_agpr, 0
	.set _Z19shuffle_down_kernelILj256ELj128ElEvPT1_S1_.numbered_sgpr, 7
	.set _Z19shuffle_down_kernelILj256ELj128ElEvPT1_S1_.num_named_barrier, 0
	.set _Z19shuffle_down_kernelILj256ELj128ElEvPT1_S1_.private_seg_size, 0
	.set _Z19shuffle_down_kernelILj256ELj128ElEvPT1_S1_.uses_vcc, 0
	.set _Z19shuffle_down_kernelILj256ELj128ElEvPT1_S1_.uses_flat_scratch, 0
	.set _Z19shuffle_down_kernelILj256ELj128ElEvPT1_S1_.has_dyn_sized_stack, 0
	.set _Z19shuffle_down_kernelILj256ELj128ElEvPT1_S1_.has_recursion, 0
	.set _Z19shuffle_down_kernelILj256ELj128ElEvPT1_S1_.has_indirect_call, 0
	.section	.AMDGPU.csdata,"",@progbits
; Kernel info:
; codeLenInByte = 4224
; TotalNumSgprs: 7
; NumVgprs: 10
; ScratchSize: 0
; MemoryBound: 1
; FloatMode: 240
; IeeeMode: 1
; LDSByteSize: 2048 bytes/workgroup (compile time only)
; SGPRBlocks: 0
; VGPRBlocks: 0
; NumSGPRsForWavesPerEU: 7
; NumVGPRsForWavesPerEU: 10
; NamedBarCnt: 0
; Occupancy: 16
; WaveLimiterHint : 1
; COMPUTE_PGM_RSRC2:SCRATCH_EN: 0
; COMPUTE_PGM_RSRC2:USER_SGPR: 2
; COMPUTE_PGM_RSRC2:TRAP_HANDLER: 0
; COMPUTE_PGM_RSRC2:TGID_X_EN: 1
; COMPUTE_PGM_RSRC2:TGID_Y_EN: 0
; COMPUTE_PGM_RSRC2:TGID_Z_EN: 0
; COMPUTE_PGM_RSRC2:TIDIG_COMP_CNT: 0
	.section	.text._Z19shuffle_down_kernelILj64ELj128ElEvPT1_S1_,"axG",@progbits,_Z19shuffle_down_kernelILj64ELj128ElEvPT1_S1_,comdat
	.protected	_Z19shuffle_down_kernelILj64ELj128ElEvPT1_S1_ ; -- Begin function _Z19shuffle_down_kernelILj64ELj128ElEvPT1_S1_
	.globl	_Z19shuffle_down_kernelILj64ELj128ElEvPT1_S1_
	.p2align	8
	.type	_Z19shuffle_down_kernelILj64ELj128ElEvPT1_S1_,@function
_Z19shuffle_down_kernelILj64ELj128ElEvPT1_S1_: ; @_Z19shuffle_down_kernelILj64ELj128ElEvPT1_S1_
; %bb.0:
	s_bfe_u32 s4, ttmp6, 0x4000c
	s_load_b128 s[0:3], s[0:1], 0x0
	s_add_co_i32 s4, s4, 1
	s_and_b32 s5, ttmp6, 15
	s_mul_i32 s4, ttmp9, s4
	s_getreg_b32 s6, hwreg(HW_REG_IB_STS2, 6, 4)
	v_dual_lshlrev_b32 v1, 7, v0 :: v_dual_mov_b32 v9, 0
	s_add_co_i32 s5, s5, s4
	s_cmp_eq_u32 s6, 0
	s_cselect_b32 s4, ttmp9, s5
	s_delay_alu instid0(VALU_DEP_1) | instid1(SALU_CYCLE_1)
	v_lshl_or_b32 v8, s4, 13, v1
	v_lshlrev_b32_e32 v1, 3, v0
	s_delay_alu instid0(VALU_DEP_2) | instskip(SKIP_1) | instid1(VALU_DEP_1)
	v_lshlrev_b64_e32 v[2:3], 3, v[8:9]
	s_wait_kmcnt 0x0
	v_add_nc_u64_e32 v[4:5], s[0:1], v[2:3]
	global_load_b128 v[4:7], v[4:5], off
	s_wait_loadcnt 0x0
	s_clause 0x1
	global_store_b64 v8, v[6:7], s[2:3] scale_offset
	global_load_b64 v[6:7], v8, s[0:1] offset:16 scale_offset
	ds_store_b64 v1, v[4:5]
	s_wait_loadcnt 0x0
	s_clause 0x1
	global_store_b64 v8, v[6:7], s[2:3] offset:8 scale_offset
	global_load_b64 v[6:7], v8, s[0:1] offset:24 scale_offset
	s_wait_loadcnt 0x0
	s_clause 0x1
	global_store_b64 v8, v[6:7], s[2:3] offset:16 scale_offset
	global_load_b64 v[6:7], v8, s[0:1] offset:32 scale_offset
	;; [unrolled: 4-line block ×125, first 2 shown]
	s_wait_xcnt 0x0
	s_mov_b32 s0, exec_lo
	s_wait_loadcnt 0x0
	global_store_b64 v8, v[6:7], s[2:3] offset:1008 scale_offset
	s_wait_storecnt_dscnt 0x0
	s_barrier_signal -1
	s_barrier_wait -1
	s_wait_xcnt 0x0
	v_cmpx_gt_u32_e32 63, v0
	s_cbranch_execz .LBB56_2
; %bb.1:
	ds_load_b64 v[0:1], v1 offset:8
	v_add_nc_u64_e32 v[2:3], s[2:3], v[2:3]
	s_wait_dscnt 0x0
	global_store_b64 v[2:3], v[0:1], off offset:1016
.LBB56_2:
	s_endpgm
	.section	.rodata,"a",@progbits
	.p2align	6, 0x0
	.amdhsa_kernel _Z19shuffle_down_kernelILj64ELj128ElEvPT1_S1_
		.amdhsa_group_segment_fixed_size 512
		.amdhsa_private_segment_fixed_size 0
		.amdhsa_kernarg_size 16
		.amdhsa_user_sgpr_count 2
		.amdhsa_user_sgpr_dispatch_ptr 0
		.amdhsa_user_sgpr_queue_ptr 0
		.amdhsa_user_sgpr_kernarg_segment_ptr 1
		.amdhsa_user_sgpr_dispatch_id 0
		.amdhsa_user_sgpr_kernarg_preload_length 0
		.amdhsa_user_sgpr_kernarg_preload_offset 0
		.amdhsa_user_sgpr_private_segment_size 0
		.amdhsa_wavefront_size32 1
		.amdhsa_uses_dynamic_stack 0
		.amdhsa_enable_private_segment 0
		.amdhsa_system_sgpr_workgroup_id_x 1
		.amdhsa_system_sgpr_workgroup_id_y 0
		.amdhsa_system_sgpr_workgroup_id_z 0
		.amdhsa_system_sgpr_workgroup_info 0
		.amdhsa_system_vgpr_workitem_id 0
		.amdhsa_next_free_vgpr 10
		.amdhsa_next_free_sgpr 7
		.amdhsa_named_barrier_count 0
		.amdhsa_reserve_vcc 0
		.amdhsa_float_round_mode_32 0
		.amdhsa_float_round_mode_16_64 0
		.amdhsa_float_denorm_mode_32 3
		.amdhsa_float_denorm_mode_16_64 3
		.amdhsa_fp16_overflow 0
		.amdhsa_memory_ordered 1
		.amdhsa_forward_progress 1
		.amdhsa_inst_pref_size 33
		.amdhsa_round_robin_scheduling 0
		.amdhsa_exception_fp_ieee_invalid_op 0
		.amdhsa_exception_fp_denorm_src 0
		.amdhsa_exception_fp_ieee_div_zero 0
		.amdhsa_exception_fp_ieee_overflow 0
		.amdhsa_exception_fp_ieee_underflow 0
		.amdhsa_exception_fp_ieee_inexact 0
		.amdhsa_exception_int_div_zero 0
	.end_amdhsa_kernel
	.section	.text._Z19shuffle_down_kernelILj64ELj128ElEvPT1_S1_,"axG",@progbits,_Z19shuffle_down_kernelILj64ELj128ElEvPT1_S1_,comdat
.Lfunc_end56:
	.size	_Z19shuffle_down_kernelILj64ELj128ElEvPT1_S1_, .Lfunc_end56-_Z19shuffle_down_kernelILj64ELj128ElEvPT1_S1_
                                        ; -- End function
	.set _Z19shuffle_down_kernelILj64ELj128ElEvPT1_S1_.num_vgpr, 10
	.set _Z19shuffle_down_kernelILj64ELj128ElEvPT1_S1_.num_agpr, 0
	.set _Z19shuffle_down_kernelILj64ELj128ElEvPT1_S1_.numbered_sgpr, 7
	.set _Z19shuffle_down_kernelILj64ELj128ElEvPT1_S1_.num_named_barrier, 0
	.set _Z19shuffle_down_kernelILj64ELj128ElEvPT1_S1_.private_seg_size, 0
	.set _Z19shuffle_down_kernelILj64ELj128ElEvPT1_S1_.uses_vcc, 0
	.set _Z19shuffle_down_kernelILj64ELj128ElEvPT1_S1_.uses_flat_scratch, 0
	.set _Z19shuffle_down_kernelILj64ELj128ElEvPT1_S1_.has_dyn_sized_stack, 0
	.set _Z19shuffle_down_kernelILj64ELj128ElEvPT1_S1_.has_recursion, 0
	.set _Z19shuffle_down_kernelILj64ELj128ElEvPT1_S1_.has_indirect_call, 0
	.section	.AMDGPU.csdata,"",@progbits
; Kernel info:
; codeLenInByte = 4220
; TotalNumSgprs: 7
; NumVgprs: 10
; ScratchSize: 0
; MemoryBound: 1
; FloatMode: 240
; IeeeMode: 1
; LDSByteSize: 512 bytes/workgroup (compile time only)
; SGPRBlocks: 0
; VGPRBlocks: 0
; NumSGPRsForWavesPerEU: 7
; NumVGPRsForWavesPerEU: 10
; NamedBarCnt: 0
; Occupancy: 16
; WaveLimiterHint : 1
; COMPUTE_PGM_RSRC2:SCRATCH_EN: 0
; COMPUTE_PGM_RSRC2:USER_SGPR: 2
; COMPUTE_PGM_RSRC2:TRAP_HANDLER: 0
; COMPUTE_PGM_RSRC2:TGID_X_EN: 1
; COMPUTE_PGM_RSRC2:TGID_Y_EN: 0
; COMPUTE_PGM_RSRC2:TGID_Z_EN: 0
; COMPUTE_PGM_RSRC2:TIDIG_COMP_CNT: 0
	.section	.text._Z19shuffle_down_kernelILj377ELj128EjEvPT1_S1_,"axG",@progbits,_Z19shuffle_down_kernelILj377ELj128EjEvPT1_S1_,comdat
	.protected	_Z19shuffle_down_kernelILj377ELj128EjEvPT1_S1_ ; -- Begin function _Z19shuffle_down_kernelILj377ELj128EjEvPT1_S1_
	.globl	_Z19shuffle_down_kernelILj377ELj128EjEvPT1_S1_
	.p2align	8
	.type	_Z19shuffle_down_kernelILj377ELj128EjEvPT1_S1_,@function
_Z19shuffle_down_kernelILj377ELj128EjEvPT1_S1_: ; @_Z19shuffle_down_kernelILj377ELj128EjEvPT1_S1_
; %bb.0:
	s_bfe_u32 s4, ttmp6, 0x4000c
	s_and_b32 s5, ttmp6, 15
	s_add_co_i32 s4, s4, 1
	s_load_b128 s[0:3], s[0:1], 0x0
	s_mul_i32 s4, ttmp9, s4
	s_getreg_b32 s6, hwreg(HW_REG_IB_STS2, 6, 4)
	s_add_co_i32 s5, s5, s4
	s_cmp_eq_u32 s6, 0
	v_mov_b32_e32 v5, 0
	s_cselect_b32 s4, ttmp9, s5
	s_delay_alu instid0(SALU_CYCLE_1) | instskip(NEXT) | instid1(SALU_CYCLE_1)
	s_mulk_i32 s4, 0x179
	v_add_lshl_u32 v4, s4, v0, 7
	s_delay_alu instid0(VALU_DEP_1) | instskip(SKIP_1) | instid1(VALU_DEP_1)
	v_lshlrev_b64_e32 v[2:3], 2, v[4:5]
	s_wait_kmcnt 0x0
	v_add_nc_u64_e32 v[6:7], s[0:1], v[2:3]
	global_load_b64 v[6:7], v[6:7], off
	s_wait_loadcnt 0x0
	s_clause 0x1
	global_store_b32 v4, v7, s[2:3] scale_offset
	global_load_b32 v1, v4, s[0:1] offset:8 scale_offset
	s_wait_loadcnt 0x0
	s_clause 0x1
	global_store_b32 v4, v1, s[2:3] offset:4 scale_offset
	global_load_b32 v1, v4, s[0:1] offset:12 scale_offset
	s_wait_loadcnt 0x0
	s_clause 0x1
	global_store_b32 v4, v1, s[2:3] offset:8 scale_offset
	;; [unrolled: 4-line block ×125, first 2 shown]
	global_load_b32 v5, v4, s[0:1] offset:508 scale_offset
	s_wait_xcnt 0x1
	v_lshlrev_b32_e32 v1, 2, v0
	s_wait_xcnt 0x0
	s_mov_b32 s0, exec_lo
	ds_store_b32 v1, v6
	s_wait_loadcnt 0x0
	global_store_b32 v4, v5, s[2:3] offset:504 scale_offset
	s_wait_storecnt_dscnt 0x0
	s_barrier_signal -1
	s_barrier_wait -1
	s_wait_xcnt 0x0
	v_cmpx_gt_u32_e32 0x178, v0
	s_cbranch_execz .LBB57_2
; %bb.1:
	ds_load_b32 v4, v1 offset:4
	v_add_nc_u64_e32 v[0:1], s[2:3], v[2:3]
	s_wait_dscnt 0x0
	global_store_b32 v[0:1], v4, off offset:508
.LBB57_2:
	s_endpgm
	.section	.rodata,"a",@progbits
	.p2align	6, 0x0
	.amdhsa_kernel _Z19shuffle_down_kernelILj377ELj128EjEvPT1_S1_
		.amdhsa_group_segment_fixed_size 1508
		.amdhsa_private_segment_fixed_size 0
		.amdhsa_kernarg_size 16
		.amdhsa_user_sgpr_count 2
		.amdhsa_user_sgpr_dispatch_ptr 0
		.amdhsa_user_sgpr_queue_ptr 0
		.amdhsa_user_sgpr_kernarg_segment_ptr 1
		.amdhsa_user_sgpr_dispatch_id 0
		.amdhsa_user_sgpr_kernarg_preload_length 0
		.amdhsa_user_sgpr_kernarg_preload_offset 0
		.amdhsa_user_sgpr_private_segment_size 0
		.amdhsa_wavefront_size32 1
		.amdhsa_uses_dynamic_stack 0
		.amdhsa_enable_private_segment 0
		.amdhsa_system_sgpr_workgroup_id_x 1
		.amdhsa_system_sgpr_workgroup_id_y 0
		.amdhsa_system_sgpr_workgroup_id_z 0
		.amdhsa_system_sgpr_workgroup_info 0
		.amdhsa_system_vgpr_workitem_id 0
		.amdhsa_next_free_vgpr 8
		.amdhsa_next_free_sgpr 7
		.amdhsa_named_barrier_count 0
		.amdhsa_reserve_vcc 0
		.amdhsa_float_round_mode_32 0
		.amdhsa_float_round_mode_16_64 0
		.amdhsa_float_denorm_mode_32 3
		.amdhsa_float_denorm_mode_16_64 3
		.amdhsa_fp16_overflow 0
		.amdhsa_memory_ordered 1
		.amdhsa_forward_progress 1
		.amdhsa_inst_pref_size 33
		.amdhsa_round_robin_scheduling 0
		.amdhsa_exception_fp_ieee_invalid_op 0
		.amdhsa_exception_fp_denorm_src 0
		.amdhsa_exception_fp_ieee_div_zero 0
		.amdhsa_exception_fp_ieee_overflow 0
		.amdhsa_exception_fp_ieee_underflow 0
		.amdhsa_exception_fp_ieee_inexact 0
		.amdhsa_exception_int_div_zero 0
	.end_amdhsa_kernel
	.section	.text._Z19shuffle_down_kernelILj377ELj128EjEvPT1_S1_,"axG",@progbits,_Z19shuffle_down_kernelILj377ELj128EjEvPT1_S1_,comdat
.Lfunc_end57:
	.size	_Z19shuffle_down_kernelILj377ELj128EjEvPT1_S1_, .Lfunc_end57-_Z19shuffle_down_kernelILj377ELj128EjEvPT1_S1_
                                        ; -- End function
	.set _Z19shuffle_down_kernelILj377ELj128EjEvPT1_S1_.num_vgpr, 8
	.set _Z19shuffle_down_kernelILj377ELj128EjEvPT1_S1_.num_agpr, 0
	.set _Z19shuffle_down_kernelILj377ELj128EjEvPT1_S1_.numbered_sgpr, 7
	.set _Z19shuffle_down_kernelILj377ELj128EjEvPT1_S1_.num_named_barrier, 0
	.set _Z19shuffle_down_kernelILj377ELj128EjEvPT1_S1_.private_seg_size, 0
	.set _Z19shuffle_down_kernelILj377ELj128EjEvPT1_S1_.uses_vcc, 0
	.set _Z19shuffle_down_kernelILj377ELj128EjEvPT1_S1_.uses_flat_scratch, 0
	.set _Z19shuffle_down_kernelILj377ELj128EjEvPT1_S1_.has_dyn_sized_stack, 0
	.set _Z19shuffle_down_kernelILj377ELj128EjEvPT1_S1_.has_recursion, 0
	.set _Z19shuffle_down_kernelILj377ELj128EjEvPT1_S1_.has_indirect_call, 0
	.section	.AMDGPU.csdata,"",@progbits
; Kernel info:
; codeLenInByte = 4224
; TotalNumSgprs: 7
; NumVgprs: 8
; ScratchSize: 0
; MemoryBound: 1
; FloatMode: 240
; IeeeMode: 1
; LDSByteSize: 1508 bytes/workgroup (compile time only)
; SGPRBlocks: 0
; VGPRBlocks: 0
; NumSGPRsForWavesPerEU: 7
; NumVGPRsForWavesPerEU: 8
; NamedBarCnt: 0
; Occupancy: 16
; WaveLimiterHint : 1
; COMPUTE_PGM_RSRC2:SCRATCH_EN: 0
; COMPUTE_PGM_RSRC2:USER_SGPR: 2
; COMPUTE_PGM_RSRC2:TRAP_HANDLER: 0
; COMPUTE_PGM_RSRC2:TGID_X_EN: 1
; COMPUTE_PGM_RSRC2:TGID_Y_EN: 0
; COMPUTE_PGM_RSRC2:TGID_Z_EN: 0
; COMPUTE_PGM_RSRC2:TIDIG_COMP_CNT: 0
	.section	.text._Z19shuffle_down_kernelILj256ELj128EjEvPT1_S1_,"axG",@progbits,_Z19shuffle_down_kernelILj256ELj128EjEvPT1_S1_,comdat
	.protected	_Z19shuffle_down_kernelILj256ELj128EjEvPT1_S1_ ; -- Begin function _Z19shuffle_down_kernelILj256ELj128EjEvPT1_S1_
	.globl	_Z19shuffle_down_kernelILj256ELj128EjEvPT1_S1_
	.p2align	8
	.type	_Z19shuffle_down_kernelILj256ELj128EjEvPT1_S1_,@function
_Z19shuffle_down_kernelILj256ELj128EjEvPT1_S1_: ; @_Z19shuffle_down_kernelILj256ELj128EjEvPT1_S1_
; %bb.0:
	s_bfe_u32 s4, ttmp6, 0x4000c
	s_load_b128 s[0:3], s[0:1], 0x0
	s_add_co_i32 s4, s4, 1
	s_and_b32 s5, ttmp6, 15
	s_mul_i32 s4, ttmp9, s4
	s_getreg_b32 s6, hwreg(HW_REG_IB_STS2, 6, 4)
	v_dual_lshlrev_b32 v1, 7, v0 :: v_dual_mov_b32 v5, 0
	s_add_co_i32 s5, s5, s4
	s_cmp_eq_u32 s6, 0
	s_cselect_b32 s4, ttmp9, s5
	s_delay_alu instid0(VALU_DEP_1) | instid1(SALU_CYCLE_1)
	v_lshl_or_b32 v4, s4, 15, v1
	s_delay_alu instid0(VALU_DEP_1) | instskip(SKIP_1) | instid1(VALU_DEP_1)
	v_lshlrev_b64_e32 v[2:3], 2, v[4:5]
	s_wait_kmcnt 0x0
	v_add_nc_u64_e32 v[6:7], s[0:1], v[2:3]
	global_load_b64 v[6:7], v[6:7], off
	s_wait_loadcnt 0x0
	s_clause 0x1
	global_store_b32 v4, v7, s[2:3] scale_offset
	global_load_b32 v1, v4, s[0:1] offset:8 scale_offset
	s_wait_loadcnt 0x0
	s_clause 0x1
	global_store_b32 v4, v1, s[2:3] offset:4 scale_offset
	global_load_b32 v1, v4, s[0:1] offset:12 scale_offset
	s_wait_loadcnt 0x0
	s_clause 0x1
	global_store_b32 v4, v1, s[2:3] offset:8 scale_offset
	;; [unrolled: 4-line block ×125, first 2 shown]
	global_load_b32 v5, v4, s[0:1] offset:508 scale_offset
	s_wait_xcnt 0x1
	v_lshlrev_b32_e32 v1, 2, v0
	s_wait_xcnt 0x0
	s_mov_b32 s0, exec_lo
	ds_store_b32 v1, v6
	s_wait_loadcnt 0x0
	global_store_b32 v4, v5, s[2:3] offset:504 scale_offset
	s_wait_storecnt_dscnt 0x0
	s_barrier_signal -1
	s_barrier_wait -1
	s_wait_xcnt 0x0
	v_cmpx_gt_u32_e32 0xff, v0
	s_cbranch_execz .LBB58_2
; %bb.1:
	ds_load_b32 v4, v1 offset:4
	v_add_nc_u64_e32 v[0:1], s[2:3], v[2:3]
	s_wait_dscnt 0x0
	global_store_b32 v[0:1], v4, off offset:508
.LBB58_2:
	s_endpgm
	.section	.rodata,"a",@progbits
	.p2align	6, 0x0
	.amdhsa_kernel _Z19shuffle_down_kernelILj256ELj128EjEvPT1_S1_
		.amdhsa_group_segment_fixed_size 1024
		.amdhsa_private_segment_fixed_size 0
		.amdhsa_kernarg_size 16
		.amdhsa_user_sgpr_count 2
		.amdhsa_user_sgpr_dispatch_ptr 0
		.amdhsa_user_sgpr_queue_ptr 0
		.amdhsa_user_sgpr_kernarg_segment_ptr 1
		.amdhsa_user_sgpr_dispatch_id 0
		.amdhsa_user_sgpr_kernarg_preload_length 0
		.amdhsa_user_sgpr_kernarg_preload_offset 0
		.amdhsa_user_sgpr_private_segment_size 0
		.amdhsa_wavefront_size32 1
		.amdhsa_uses_dynamic_stack 0
		.amdhsa_enable_private_segment 0
		.amdhsa_system_sgpr_workgroup_id_x 1
		.amdhsa_system_sgpr_workgroup_id_y 0
		.amdhsa_system_sgpr_workgroup_id_z 0
		.amdhsa_system_sgpr_workgroup_info 0
		.amdhsa_system_vgpr_workitem_id 0
		.amdhsa_next_free_vgpr 8
		.amdhsa_next_free_sgpr 7
		.amdhsa_named_barrier_count 0
		.amdhsa_reserve_vcc 0
		.amdhsa_float_round_mode_32 0
		.amdhsa_float_round_mode_16_64 0
		.amdhsa_float_denorm_mode_32 3
		.amdhsa_float_denorm_mode_16_64 3
		.amdhsa_fp16_overflow 0
		.amdhsa_memory_ordered 1
		.amdhsa_forward_progress 1
		.amdhsa_inst_pref_size 34
		.amdhsa_round_robin_scheduling 0
		.amdhsa_exception_fp_ieee_invalid_op 0
		.amdhsa_exception_fp_denorm_src 0
		.amdhsa_exception_fp_ieee_div_zero 0
		.amdhsa_exception_fp_ieee_overflow 0
		.amdhsa_exception_fp_ieee_underflow 0
		.amdhsa_exception_fp_ieee_inexact 0
		.amdhsa_exception_int_div_zero 0
	.end_amdhsa_kernel
	.section	.text._Z19shuffle_down_kernelILj256ELj128EjEvPT1_S1_,"axG",@progbits,_Z19shuffle_down_kernelILj256ELj128EjEvPT1_S1_,comdat
.Lfunc_end58:
	.size	_Z19shuffle_down_kernelILj256ELj128EjEvPT1_S1_, .Lfunc_end58-_Z19shuffle_down_kernelILj256ELj128EjEvPT1_S1_
                                        ; -- End function
	.set _Z19shuffle_down_kernelILj256ELj128EjEvPT1_S1_.num_vgpr, 8
	.set _Z19shuffle_down_kernelILj256ELj128EjEvPT1_S1_.num_agpr, 0
	.set _Z19shuffle_down_kernelILj256ELj128EjEvPT1_S1_.numbered_sgpr, 7
	.set _Z19shuffle_down_kernelILj256ELj128EjEvPT1_S1_.num_named_barrier, 0
	.set _Z19shuffle_down_kernelILj256ELj128EjEvPT1_S1_.private_seg_size, 0
	.set _Z19shuffle_down_kernelILj256ELj128EjEvPT1_S1_.uses_vcc, 0
	.set _Z19shuffle_down_kernelILj256ELj128EjEvPT1_S1_.uses_flat_scratch, 0
	.set _Z19shuffle_down_kernelILj256ELj128EjEvPT1_S1_.has_dyn_sized_stack, 0
	.set _Z19shuffle_down_kernelILj256ELj128EjEvPT1_S1_.has_recursion, 0
	.set _Z19shuffle_down_kernelILj256ELj128EjEvPT1_S1_.has_indirect_call, 0
	.section	.AMDGPU.csdata,"",@progbits
; Kernel info:
; codeLenInByte = 4228
; TotalNumSgprs: 7
; NumVgprs: 8
; ScratchSize: 0
; MemoryBound: 1
; FloatMode: 240
; IeeeMode: 1
; LDSByteSize: 1024 bytes/workgroup (compile time only)
; SGPRBlocks: 0
; VGPRBlocks: 0
; NumSGPRsForWavesPerEU: 7
; NumVGPRsForWavesPerEU: 8
; NamedBarCnt: 0
; Occupancy: 16
; WaveLimiterHint : 1
; COMPUTE_PGM_RSRC2:SCRATCH_EN: 0
; COMPUTE_PGM_RSRC2:USER_SGPR: 2
; COMPUTE_PGM_RSRC2:TRAP_HANDLER: 0
; COMPUTE_PGM_RSRC2:TGID_X_EN: 1
; COMPUTE_PGM_RSRC2:TGID_Y_EN: 0
; COMPUTE_PGM_RSRC2:TGID_Z_EN: 0
; COMPUTE_PGM_RSRC2:TIDIG_COMP_CNT: 0
	.section	.text._Z19shuffle_down_kernelILj64ELj128EjEvPT1_S1_,"axG",@progbits,_Z19shuffle_down_kernelILj64ELj128EjEvPT1_S1_,comdat
	.protected	_Z19shuffle_down_kernelILj64ELj128EjEvPT1_S1_ ; -- Begin function _Z19shuffle_down_kernelILj64ELj128EjEvPT1_S1_
	.globl	_Z19shuffle_down_kernelILj64ELj128EjEvPT1_S1_
	.p2align	8
	.type	_Z19shuffle_down_kernelILj64ELj128EjEvPT1_S1_,@function
_Z19shuffle_down_kernelILj64ELj128EjEvPT1_S1_: ; @_Z19shuffle_down_kernelILj64ELj128EjEvPT1_S1_
; %bb.0:
	s_bfe_u32 s4, ttmp6, 0x4000c
	s_load_b128 s[0:3], s[0:1], 0x0
	s_add_co_i32 s4, s4, 1
	s_and_b32 s5, ttmp6, 15
	s_mul_i32 s4, ttmp9, s4
	s_getreg_b32 s6, hwreg(HW_REG_IB_STS2, 6, 4)
	v_dual_lshlrev_b32 v1, 7, v0 :: v_dual_mov_b32 v5, 0
	s_add_co_i32 s5, s5, s4
	s_cmp_eq_u32 s6, 0
	s_cselect_b32 s4, ttmp9, s5
	s_delay_alu instid0(VALU_DEP_1) | instid1(SALU_CYCLE_1)
	v_lshl_or_b32 v4, s4, 13, v1
	s_delay_alu instid0(VALU_DEP_1) | instskip(SKIP_1) | instid1(VALU_DEP_1)
	v_lshlrev_b64_e32 v[2:3], 2, v[4:5]
	s_wait_kmcnt 0x0
	v_add_nc_u64_e32 v[6:7], s[0:1], v[2:3]
	global_load_b64 v[6:7], v[6:7], off
	s_wait_loadcnt 0x0
	s_clause 0x1
	global_store_b32 v4, v7, s[2:3] scale_offset
	global_load_b32 v1, v4, s[0:1] offset:8 scale_offset
	s_wait_loadcnt 0x0
	s_clause 0x1
	global_store_b32 v4, v1, s[2:3] offset:4 scale_offset
	global_load_b32 v1, v4, s[0:1] offset:12 scale_offset
	s_wait_loadcnt 0x0
	s_clause 0x1
	global_store_b32 v4, v1, s[2:3] offset:8 scale_offset
	;; [unrolled: 4-line block ×125, first 2 shown]
	global_load_b32 v5, v4, s[0:1] offset:508 scale_offset
	s_wait_xcnt 0x1
	v_lshlrev_b32_e32 v1, 2, v0
	s_wait_xcnt 0x0
	s_mov_b32 s0, exec_lo
	ds_store_b32 v1, v6
	s_wait_loadcnt 0x0
	global_store_b32 v4, v5, s[2:3] offset:504 scale_offset
	s_wait_storecnt_dscnt 0x0
	s_barrier_signal -1
	s_barrier_wait -1
	s_wait_xcnt 0x0
	v_cmpx_gt_u32_e32 63, v0
	s_cbranch_execz .LBB59_2
; %bb.1:
	ds_load_b32 v4, v1 offset:4
	v_add_nc_u64_e32 v[0:1], s[2:3], v[2:3]
	s_wait_dscnt 0x0
	global_store_b32 v[0:1], v4, off offset:508
.LBB59_2:
	s_endpgm
	.section	.rodata,"a",@progbits
	.p2align	6, 0x0
	.amdhsa_kernel _Z19shuffle_down_kernelILj64ELj128EjEvPT1_S1_
		.amdhsa_group_segment_fixed_size 256
		.amdhsa_private_segment_fixed_size 0
		.amdhsa_kernarg_size 16
		.amdhsa_user_sgpr_count 2
		.amdhsa_user_sgpr_dispatch_ptr 0
		.amdhsa_user_sgpr_queue_ptr 0
		.amdhsa_user_sgpr_kernarg_segment_ptr 1
		.amdhsa_user_sgpr_dispatch_id 0
		.amdhsa_user_sgpr_kernarg_preload_length 0
		.amdhsa_user_sgpr_kernarg_preload_offset 0
		.amdhsa_user_sgpr_private_segment_size 0
		.amdhsa_wavefront_size32 1
		.amdhsa_uses_dynamic_stack 0
		.amdhsa_enable_private_segment 0
		.amdhsa_system_sgpr_workgroup_id_x 1
		.amdhsa_system_sgpr_workgroup_id_y 0
		.amdhsa_system_sgpr_workgroup_id_z 0
		.amdhsa_system_sgpr_workgroup_info 0
		.amdhsa_system_vgpr_workitem_id 0
		.amdhsa_next_free_vgpr 8
		.amdhsa_next_free_sgpr 7
		.amdhsa_named_barrier_count 0
		.amdhsa_reserve_vcc 0
		.amdhsa_float_round_mode_32 0
		.amdhsa_float_round_mode_16_64 0
		.amdhsa_float_denorm_mode_32 3
		.amdhsa_float_denorm_mode_16_64 3
		.amdhsa_fp16_overflow 0
		.amdhsa_memory_ordered 1
		.amdhsa_forward_progress 1
		.amdhsa_inst_pref_size 33
		.amdhsa_round_robin_scheduling 0
		.amdhsa_exception_fp_ieee_invalid_op 0
		.amdhsa_exception_fp_denorm_src 0
		.amdhsa_exception_fp_ieee_div_zero 0
		.amdhsa_exception_fp_ieee_overflow 0
		.amdhsa_exception_fp_ieee_underflow 0
		.amdhsa_exception_fp_ieee_inexact 0
		.amdhsa_exception_int_div_zero 0
	.end_amdhsa_kernel
	.section	.text._Z19shuffle_down_kernelILj64ELj128EjEvPT1_S1_,"axG",@progbits,_Z19shuffle_down_kernelILj64ELj128EjEvPT1_S1_,comdat
.Lfunc_end59:
	.size	_Z19shuffle_down_kernelILj64ELj128EjEvPT1_S1_, .Lfunc_end59-_Z19shuffle_down_kernelILj64ELj128EjEvPT1_S1_
                                        ; -- End function
	.set _Z19shuffle_down_kernelILj64ELj128EjEvPT1_S1_.num_vgpr, 8
	.set _Z19shuffle_down_kernelILj64ELj128EjEvPT1_S1_.num_agpr, 0
	.set _Z19shuffle_down_kernelILj64ELj128EjEvPT1_S1_.numbered_sgpr, 7
	.set _Z19shuffle_down_kernelILj64ELj128EjEvPT1_S1_.num_named_barrier, 0
	.set _Z19shuffle_down_kernelILj64ELj128EjEvPT1_S1_.private_seg_size, 0
	.set _Z19shuffle_down_kernelILj64ELj128EjEvPT1_S1_.uses_vcc, 0
	.set _Z19shuffle_down_kernelILj64ELj128EjEvPT1_S1_.uses_flat_scratch, 0
	.set _Z19shuffle_down_kernelILj64ELj128EjEvPT1_S1_.has_dyn_sized_stack, 0
	.set _Z19shuffle_down_kernelILj64ELj128EjEvPT1_S1_.has_recursion, 0
	.set _Z19shuffle_down_kernelILj64ELj128EjEvPT1_S1_.has_indirect_call, 0
	.section	.AMDGPU.csdata,"",@progbits
; Kernel info:
; codeLenInByte = 4224
; TotalNumSgprs: 7
; NumVgprs: 8
; ScratchSize: 0
; MemoryBound: 1
; FloatMode: 240
; IeeeMode: 1
; LDSByteSize: 256 bytes/workgroup (compile time only)
; SGPRBlocks: 0
; VGPRBlocks: 0
; NumSGPRsForWavesPerEU: 7
; NumVGPRsForWavesPerEU: 8
; NamedBarCnt: 0
; Occupancy: 16
; WaveLimiterHint : 1
; COMPUTE_PGM_RSRC2:SCRATCH_EN: 0
; COMPUTE_PGM_RSRC2:USER_SGPR: 2
; COMPUTE_PGM_RSRC2:TRAP_HANDLER: 0
; COMPUTE_PGM_RSRC2:TGID_X_EN: 1
; COMPUTE_PGM_RSRC2:TGID_Y_EN: 0
; COMPUTE_PGM_RSRC2:TGID_Z_EN: 0
; COMPUTE_PGM_RSRC2:TIDIG_COMP_CNT: 0
	.section	.text._Z19shuffle_down_kernelILj255ELj128EiEvPT1_S1_,"axG",@progbits,_Z19shuffle_down_kernelILj255ELj128EiEvPT1_S1_,comdat
	.protected	_Z19shuffle_down_kernelILj255ELj128EiEvPT1_S1_ ; -- Begin function _Z19shuffle_down_kernelILj255ELj128EiEvPT1_S1_
	.globl	_Z19shuffle_down_kernelILj255ELj128EiEvPT1_S1_
	.p2align	8
	.type	_Z19shuffle_down_kernelILj255ELj128EiEvPT1_S1_,@function
_Z19shuffle_down_kernelILj255ELj128EiEvPT1_S1_: ; @_Z19shuffle_down_kernelILj255ELj128EiEvPT1_S1_
; %bb.0:
	s_bfe_u32 s4, ttmp6, 0x4000c
	s_and_b32 s5, ttmp6, 15
	s_add_co_i32 s4, s4, 1
	s_load_b128 s[0:3], s[0:1], 0x0
	s_mul_i32 s4, ttmp9, s4
	s_getreg_b32 s6, hwreg(HW_REG_IB_STS2, 6, 4)
	s_add_co_i32 s5, s5, s4
	s_cmp_eq_u32 s6, 0
	v_mov_b32_e32 v5, 0
	s_cselect_b32 s4, ttmp9, s5
	s_delay_alu instid0(SALU_CYCLE_1) | instskip(NEXT) | instid1(SALU_CYCLE_1)
	s_mulk_i32 s4, 0xff
	v_add_lshl_u32 v4, s4, v0, 7
	s_delay_alu instid0(VALU_DEP_1) | instskip(SKIP_1) | instid1(VALU_DEP_1)
	v_lshlrev_b64_e32 v[2:3], 2, v[4:5]
	s_wait_kmcnt 0x0
	v_add_nc_u64_e32 v[6:7], s[0:1], v[2:3]
	global_load_b64 v[6:7], v[6:7], off
	s_wait_loadcnt 0x0
	s_clause 0x1
	global_store_b32 v4, v7, s[2:3] scale_offset
	global_load_b32 v1, v4, s[0:1] offset:8 scale_offset
	s_wait_loadcnt 0x0
	s_clause 0x1
	global_store_b32 v4, v1, s[2:3] offset:4 scale_offset
	global_load_b32 v1, v4, s[0:1] offset:12 scale_offset
	s_wait_loadcnt 0x0
	s_clause 0x1
	global_store_b32 v4, v1, s[2:3] offset:8 scale_offset
	;; [unrolled: 4-line block ×125, first 2 shown]
	global_load_b32 v5, v4, s[0:1] offset:508 scale_offset
	s_wait_xcnt 0x1
	v_lshlrev_b32_e32 v1, 2, v0
	s_wait_xcnt 0x0
	s_mov_b32 s0, exec_lo
	ds_store_b32 v1, v6
	s_wait_loadcnt 0x0
	global_store_b32 v4, v5, s[2:3] offset:504 scale_offset
	s_wait_storecnt_dscnt 0x0
	s_barrier_signal -1
	s_barrier_wait -1
	s_wait_xcnt 0x0
	v_cmpx_gt_u32_e32 0xfe, v0
	s_cbranch_execz .LBB60_2
; %bb.1:
	ds_load_b32 v4, v1 offset:4
	v_add_nc_u64_e32 v[0:1], s[2:3], v[2:3]
	s_wait_dscnt 0x0
	global_store_b32 v[0:1], v4, off offset:508
.LBB60_2:
	s_endpgm
	.section	.rodata,"a",@progbits
	.p2align	6, 0x0
	.amdhsa_kernel _Z19shuffle_down_kernelILj255ELj128EiEvPT1_S1_
		.amdhsa_group_segment_fixed_size 1020
		.amdhsa_private_segment_fixed_size 0
		.amdhsa_kernarg_size 16
		.amdhsa_user_sgpr_count 2
		.amdhsa_user_sgpr_dispatch_ptr 0
		.amdhsa_user_sgpr_queue_ptr 0
		.amdhsa_user_sgpr_kernarg_segment_ptr 1
		.amdhsa_user_sgpr_dispatch_id 0
		.amdhsa_user_sgpr_kernarg_preload_length 0
		.amdhsa_user_sgpr_kernarg_preload_offset 0
		.amdhsa_user_sgpr_private_segment_size 0
		.amdhsa_wavefront_size32 1
		.amdhsa_uses_dynamic_stack 0
		.amdhsa_enable_private_segment 0
		.amdhsa_system_sgpr_workgroup_id_x 1
		.amdhsa_system_sgpr_workgroup_id_y 0
		.amdhsa_system_sgpr_workgroup_id_z 0
		.amdhsa_system_sgpr_workgroup_info 0
		.amdhsa_system_vgpr_workitem_id 0
		.amdhsa_next_free_vgpr 8
		.amdhsa_next_free_sgpr 7
		.amdhsa_named_barrier_count 0
		.amdhsa_reserve_vcc 0
		.amdhsa_float_round_mode_32 0
		.amdhsa_float_round_mode_16_64 0
		.amdhsa_float_denorm_mode_32 3
		.amdhsa_float_denorm_mode_16_64 3
		.amdhsa_fp16_overflow 0
		.amdhsa_memory_ordered 1
		.amdhsa_forward_progress 1
		.amdhsa_inst_pref_size 33
		.amdhsa_round_robin_scheduling 0
		.amdhsa_exception_fp_ieee_invalid_op 0
		.amdhsa_exception_fp_denorm_src 0
		.amdhsa_exception_fp_ieee_div_zero 0
		.amdhsa_exception_fp_ieee_overflow 0
		.amdhsa_exception_fp_ieee_underflow 0
		.amdhsa_exception_fp_ieee_inexact 0
		.amdhsa_exception_int_div_zero 0
	.end_amdhsa_kernel
	.section	.text._Z19shuffle_down_kernelILj255ELj128EiEvPT1_S1_,"axG",@progbits,_Z19shuffle_down_kernelILj255ELj128EiEvPT1_S1_,comdat
.Lfunc_end60:
	.size	_Z19shuffle_down_kernelILj255ELj128EiEvPT1_S1_, .Lfunc_end60-_Z19shuffle_down_kernelILj255ELj128EiEvPT1_S1_
                                        ; -- End function
	.set _Z19shuffle_down_kernelILj255ELj128EiEvPT1_S1_.num_vgpr, 8
	.set _Z19shuffle_down_kernelILj255ELj128EiEvPT1_S1_.num_agpr, 0
	.set _Z19shuffle_down_kernelILj255ELj128EiEvPT1_S1_.numbered_sgpr, 7
	.set _Z19shuffle_down_kernelILj255ELj128EiEvPT1_S1_.num_named_barrier, 0
	.set _Z19shuffle_down_kernelILj255ELj128EiEvPT1_S1_.private_seg_size, 0
	.set _Z19shuffle_down_kernelILj255ELj128EiEvPT1_S1_.uses_vcc, 0
	.set _Z19shuffle_down_kernelILj255ELj128EiEvPT1_S1_.uses_flat_scratch, 0
	.set _Z19shuffle_down_kernelILj255ELj128EiEvPT1_S1_.has_dyn_sized_stack, 0
	.set _Z19shuffle_down_kernelILj255ELj128EiEvPT1_S1_.has_recursion, 0
	.set _Z19shuffle_down_kernelILj255ELj128EiEvPT1_S1_.has_indirect_call, 0
	.section	.AMDGPU.csdata,"",@progbits
; Kernel info:
; codeLenInByte = 4224
; TotalNumSgprs: 7
; NumVgprs: 8
; ScratchSize: 0
; MemoryBound: 1
; FloatMode: 240
; IeeeMode: 1
; LDSByteSize: 1020 bytes/workgroup (compile time only)
; SGPRBlocks: 0
; VGPRBlocks: 0
; NumSGPRsForWavesPerEU: 7
; NumVGPRsForWavesPerEU: 8
; NamedBarCnt: 0
; Occupancy: 16
; WaveLimiterHint : 1
; COMPUTE_PGM_RSRC2:SCRATCH_EN: 0
; COMPUTE_PGM_RSRC2:USER_SGPR: 2
; COMPUTE_PGM_RSRC2:TRAP_HANDLER: 0
; COMPUTE_PGM_RSRC2:TGID_X_EN: 1
; COMPUTE_PGM_RSRC2:TGID_Y_EN: 0
; COMPUTE_PGM_RSRC2:TGID_Z_EN: 0
; COMPUTE_PGM_RSRC2:TIDIG_COMP_CNT: 0
	.section	.text._Z19shuffle_down_kernelILj162ELj128EiEvPT1_S1_,"axG",@progbits,_Z19shuffle_down_kernelILj162ELj128EiEvPT1_S1_,comdat
	.protected	_Z19shuffle_down_kernelILj162ELj128EiEvPT1_S1_ ; -- Begin function _Z19shuffle_down_kernelILj162ELj128EiEvPT1_S1_
	.globl	_Z19shuffle_down_kernelILj162ELj128EiEvPT1_S1_
	.p2align	8
	.type	_Z19shuffle_down_kernelILj162ELj128EiEvPT1_S1_,@function
_Z19shuffle_down_kernelILj162ELj128EiEvPT1_S1_: ; @_Z19shuffle_down_kernelILj162ELj128EiEvPT1_S1_
; %bb.0:
	s_bfe_u32 s4, ttmp6, 0x4000c
	s_and_b32 s5, ttmp6, 15
	s_add_co_i32 s4, s4, 1
	s_load_b128 s[0:3], s[0:1], 0x0
	s_mul_i32 s4, ttmp9, s4
	s_getreg_b32 s6, hwreg(HW_REG_IB_STS2, 6, 4)
	s_add_co_i32 s5, s5, s4
	s_cmp_eq_u32 s6, 0
	v_mov_b32_e32 v5, 0
	s_cselect_b32 s4, ttmp9, s5
	s_delay_alu instid0(SALU_CYCLE_1) | instskip(NEXT) | instid1(SALU_CYCLE_1)
	s_mulk_i32 s4, 0xa2
	v_add_lshl_u32 v4, s4, v0, 7
	s_delay_alu instid0(VALU_DEP_1) | instskip(SKIP_1) | instid1(VALU_DEP_1)
	v_lshlrev_b64_e32 v[2:3], 2, v[4:5]
	s_wait_kmcnt 0x0
	v_add_nc_u64_e32 v[6:7], s[0:1], v[2:3]
	global_load_b64 v[6:7], v[6:7], off
	s_wait_loadcnt 0x0
	s_clause 0x1
	global_store_b32 v4, v7, s[2:3] scale_offset
	global_load_b32 v1, v4, s[0:1] offset:8 scale_offset
	s_wait_loadcnt 0x0
	s_clause 0x1
	global_store_b32 v4, v1, s[2:3] offset:4 scale_offset
	global_load_b32 v1, v4, s[0:1] offset:12 scale_offset
	s_wait_loadcnt 0x0
	s_clause 0x1
	global_store_b32 v4, v1, s[2:3] offset:8 scale_offset
	;; [unrolled: 4-line block ×125, first 2 shown]
	global_load_b32 v5, v4, s[0:1] offset:508 scale_offset
	s_wait_xcnt 0x1
	v_lshlrev_b32_e32 v1, 2, v0
	s_wait_xcnt 0x0
	s_mov_b32 s0, exec_lo
	ds_store_b32 v1, v6
	s_wait_loadcnt 0x0
	global_store_b32 v4, v5, s[2:3] offset:504 scale_offset
	s_wait_storecnt_dscnt 0x0
	s_barrier_signal -1
	s_barrier_wait -1
	s_wait_xcnt 0x0
	v_cmpx_gt_u32_e32 0xa1, v0
	s_cbranch_execz .LBB61_2
; %bb.1:
	ds_load_b32 v4, v1 offset:4
	v_add_nc_u64_e32 v[0:1], s[2:3], v[2:3]
	s_wait_dscnt 0x0
	global_store_b32 v[0:1], v4, off offset:508
.LBB61_2:
	s_endpgm
	.section	.rodata,"a",@progbits
	.p2align	6, 0x0
	.amdhsa_kernel _Z19shuffle_down_kernelILj162ELj128EiEvPT1_S1_
		.amdhsa_group_segment_fixed_size 648
		.amdhsa_private_segment_fixed_size 0
		.amdhsa_kernarg_size 16
		.amdhsa_user_sgpr_count 2
		.amdhsa_user_sgpr_dispatch_ptr 0
		.amdhsa_user_sgpr_queue_ptr 0
		.amdhsa_user_sgpr_kernarg_segment_ptr 1
		.amdhsa_user_sgpr_dispatch_id 0
		.amdhsa_user_sgpr_kernarg_preload_length 0
		.amdhsa_user_sgpr_kernarg_preload_offset 0
		.amdhsa_user_sgpr_private_segment_size 0
		.amdhsa_wavefront_size32 1
		.amdhsa_uses_dynamic_stack 0
		.amdhsa_enable_private_segment 0
		.amdhsa_system_sgpr_workgroup_id_x 1
		.amdhsa_system_sgpr_workgroup_id_y 0
		.amdhsa_system_sgpr_workgroup_id_z 0
		.amdhsa_system_sgpr_workgroup_info 0
		.amdhsa_system_vgpr_workitem_id 0
		.amdhsa_next_free_vgpr 8
		.amdhsa_next_free_sgpr 7
		.amdhsa_named_barrier_count 0
		.amdhsa_reserve_vcc 0
		.amdhsa_float_round_mode_32 0
		.amdhsa_float_round_mode_16_64 0
		.amdhsa_float_denorm_mode_32 3
		.amdhsa_float_denorm_mode_16_64 3
		.amdhsa_fp16_overflow 0
		.amdhsa_memory_ordered 1
		.amdhsa_forward_progress 1
		.amdhsa_inst_pref_size 33
		.amdhsa_round_robin_scheduling 0
		.amdhsa_exception_fp_ieee_invalid_op 0
		.amdhsa_exception_fp_denorm_src 0
		.amdhsa_exception_fp_ieee_div_zero 0
		.amdhsa_exception_fp_ieee_overflow 0
		.amdhsa_exception_fp_ieee_underflow 0
		.amdhsa_exception_fp_ieee_inexact 0
		.amdhsa_exception_int_div_zero 0
	.end_amdhsa_kernel
	.section	.text._Z19shuffle_down_kernelILj162ELj128EiEvPT1_S1_,"axG",@progbits,_Z19shuffle_down_kernelILj162ELj128EiEvPT1_S1_,comdat
.Lfunc_end61:
	.size	_Z19shuffle_down_kernelILj162ELj128EiEvPT1_S1_, .Lfunc_end61-_Z19shuffle_down_kernelILj162ELj128EiEvPT1_S1_
                                        ; -- End function
	.set _Z19shuffle_down_kernelILj162ELj128EiEvPT1_S1_.num_vgpr, 8
	.set _Z19shuffle_down_kernelILj162ELj128EiEvPT1_S1_.num_agpr, 0
	.set _Z19shuffle_down_kernelILj162ELj128EiEvPT1_S1_.numbered_sgpr, 7
	.set _Z19shuffle_down_kernelILj162ELj128EiEvPT1_S1_.num_named_barrier, 0
	.set _Z19shuffle_down_kernelILj162ELj128EiEvPT1_S1_.private_seg_size, 0
	.set _Z19shuffle_down_kernelILj162ELj128EiEvPT1_S1_.uses_vcc, 0
	.set _Z19shuffle_down_kernelILj162ELj128EiEvPT1_S1_.uses_flat_scratch, 0
	.set _Z19shuffle_down_kernelILj162ELj128EiEvPT1_S1_.has_dyn_sized_stack, 0
	.set _Z19shuffle_down_kernelILj162ELj128EiEvPT1_S1_.has_recursion, 0
	.set _Z19shuffle_down_kernelILj162ELj128EiEvPT1_S1_.has_indirect_call, 0
	.section	.AMDGPU.csdata,"",@progbits
; Kernel info:
; codeLenInByte = 4224
; TotalNumSgprs: 7
; NumVgprs: 8
; ScratchSize: 0
; MemoryBound: 1
; FloatMode: 240
; IeeeMode: 1
; LDSByteSize: 648 bytes/workgroup (compile time only)
; SGPRBlocks: 0
; VGPRBlocks: 0
; NumSGPRsForWavesPerEU: 7
; NumVGPRsForWavesPerEU: 8
; NamedBarCnt: 0
; Occupancy: 16
; WaveLimiterHint : 1
; COMPUTE_PGM_RSRC2:SCRATCH_EN: 0
; COMPUTE_PGM_RSRC2:USER_SGPR: 2
; COMPUTE_PGM_RSRC2:TRAP_HANDLER: 0
; COMPUTE_PGM_RSRC2:TGID_X_EN: 1
; COMPUTE_PGM_RSRC2:TGID_Y_EN: 0
; COMPUTE_PGM_RSRC2:TGID_Z_EN: 0
; COMPUTE_PGM_RSRC2:TIDIG_COMP_CNT: 0
	.section	.text._Z19shuffle_down_kernelILj37ELj128EiEvPT1_S1_,"axG",@progbits,_Z19shuffle_down_kernelILj37ELj128EiEvPT1_S1_,comdat
	.protected	_Z19shuffle_down_kernelILj37ELj128EiEvPT1_S1_ ; -- Begin function _Z19shuffle_down_kernelILj37ELj128EiEvPT1_S1_
	.globl	_Z19shuffle_down_kernelILj37ELj128EiEvPT1_S1_
	.p2align	8
	.type	_Z19shuffle_down_kernelILj37ELj128EiEvPT1_S1_,@function
_Z19shuffle_down_kernelILj37ELj128EiEvPT1_S1_: ; @_Z19shuffle_down_kernelILj37ELj128EiEvPT1_S1_
; %bb.0:
	s_bfe_u32 s4, ttmp6, 0x4000c
	s_and_b32 s5, ttmp6, 15
	s_add_co_i32 s4, s4, 1
	s_load_b128 s[0:3], s[0:1], 0x0
	s_mul_i32 s4, ttmp9, s4
	s_getreg_b32 s6, hwreg(HW_REG_IB_STS2, 6, 4)
	s_add_co_i32 s5, s5, s4
	s_cmp_eq_u32 s6, 0
	v_mov_b32_e32 v5, 0
	s_cselect_b32 s4, ttmp9, s5
	s_delay_alu instid0(SALU_CYCLE_1) | instskip(NEXT) | instid1(SALU_CYCLE_1)
	s_mul_i32 s4, s4, 37
	v_add_lshl_u32 v4, s4, v0, 7
	s_delay_alu instid0(VALU_DEP_1) | instskip(SKIP_1) | instid1(VALU_DEP_1)
	v_lshlrev_b64_e32 v[2:3], 2, v[4:5]
	s_wait_kmcnt 0x0
	v_add_nc_u64_e32 v[6:7], s[0:1], v[2:3]
	global_load_b64 v[6:7], v[6:7], off
	s_wait_loadcnt 0x0
	s_clause 0x1
	global_store_b32 v4, v7, s[2:3] scale_offset
	global_load_b32 v1, v4, s[0:1] offset:8 scale_offset
	s_wait_loadcnt 0x0
	s_clause 0x1
	global_store_b32 v4, v1, s[2:3] offset:4 scale_offset
	global_load_b32 v1, v4, s[0:1] offset:12 scale_offset
	s_wait_loadcnt 0x0
	s_clause 0x1
	global_store_b32 v4, v1, s[2:3] offset:8 scale_offset
	;; [unrolled: 4-line block ×125, first 2 shown]
	global_load_b32 v5, v4, s[0:1] offset:508 scale_offset
	s_wait_xcnt 0x1
	v_lshlrev_b32_e32 v1, 2, v0
	s_wait_xcnt 0x0
	s_mov_b32 s0, exec_lo
	ds_store_b32 v1, v6
	s_wait_loadcnt 0x0
	global_store_b32 v4, v5, s[2:3] offset:504 scale_offset
	s_wait_storecnt_dscnt 0x0
	s_barrier_signal -1
	s_barrier_wait -1
	s_wait_xcnt 0x0
	v_cmpx_gt_u32_e32 36, v0
	s_cbranch_execz .LBB62_2
; %bb.1:
	ds_load_b32 v4, v1 offset:4
	v_add_nc_u64_e32 v[0:1], s[2:3], v[2:3]
	s_wait_dscnt 0x0
	global_store_b32 v[0:1], v4, off offset:508
.LBB62_2:
	s_endpgm
	.section	.rodata,"a",@progbits
	.p2align	6, 0x0
	.amdhsa_kernel _Z19shuffle_down_kernelILj37ELj128EiEvPT1_S1_
		.amdhsa_group_segment_fixed_size 148
		.amdhsa_private_segment_fixed_size 0
		.amdhsa_kernarg_size 16
		.amdhsa_user_sgpr_count 2
		.amdhsa_user_sgpr_dispatch_ptr 0
		.amdhsa_user_sgpr_queue_ptr 0
		.amdhsa_user_sgpr_kernarg_segment_ptr 1
		.amdhsa_user_sgpr_dispatch_id 0
		.amdhsa_user_sgpr_kernarg_preload_length 0
		.amdhsa_user_sgpr_kernarg_preload_offset 0
		.amdhsa_user_sgpr_private_segment_size 0
		.amdhsa_wavefront_size32 1
		.amdhsa_uses_dynamic_stack 0
		.amdhsa_enable_private_segment 0
		.amdhsa_system_sgpr_workgroup_id_x 1
		.amdhsa_system_sgpr_workgroup_id_y 0
		.amdhsa_system_sgpr_workgroup_id_z 0
		.amdhsa_system_sgpr_workgroup_info 0
		.amdhsa_system_vgpr_workitem_id 0
		.amdhsa_next_free_vgpr 8
		.amdhsa_next_free_sgpr 7
		.amdhsa_named_barrier_count 0
		.amdhsa_reserve_vcc 0
		.amdhsa_float_round_mode_32 0
		.amdhsa_float_round_mode_16_64 0
		.amdhsa_float_denorm_mode_32 3
		.amdhsa_float_denorm_mode_16_64 3
		.amdhsa_fp16_overflow 0
		.amdhsa_memory_ordered 1
		.amdhsa_forward_progress 1
		.amdhsa_inst_pref_size 33
		.amdhsa_round_robin_scheduling 0
		.amdhsa_exception_fp_ieee_invalid_op 0
		.amdhsa_exception_fp_denorm_src 0
		.amdhsa_exception_fp_ieee_div_zero 0
		.amdhsa_exception_fp_ieee_overflow 0
		.amdhsa_exception_fp_ieee_underflow 0
		.amdhsa_exception_fp_ieee_inexact 0
		.amdhsa_exception_int_div_zero 0
	.end_amdhsa_kernel
	.section	.text._Z19shuffle_down_kernelILj37ELj128EiEvPT1_S1_,"axG",@progbits,_Z19shuffle_down_kernelILj37ELj128EiEvPT1_S1_,comdat
.Lfunc_end62:
	.size	_Z19shuffle_down_kernelILj37ELj128EiEvPT1_S1_, .Lfunc_end62-_Z19shuffle_down_kernelILj37ELj128EiEvPT1_S1_
                                        ; -- End function
	.set _Z19shuffle_down_kernelILj37ELj128EiEvPT1_S1_.num_vgpr, 8
	.set _Z19shuffle_down_kernelILj37ELj128EiEvPT1_S1_.num_agpr, 0
	.set _Z19shuffle_down_kernelILj37ELj128EiEvPT1_S1_.numbered_sgpr, 7
	.set _Z19shuffle_down_kernelILj37ELj128EiEvPT1_S1_.num_named_barrier, 0
	.set _Z19shuffle_down_kernelILj37ELj128EiEvPT1_S1_.private_seg_size, 0
	.set _Z19shuffle_down_kernelILj37ELj128EiEvPT1_S1_.uses_vcc, 0
	.set _Z19shuffle_down_kernelILj37ELj128EiEvPT1_S1_.uses_flat_scratch, 0
	.set _Z19shuffle_down_kernelILj37ELj128EiEvPT1_S1_.has_dyn_sized_stack, 0
	.set _Z19shuffle_down_kernelILj37ELj128EiEvPT1_S1_.has_recursion, 0
	.set _Z19shuffle_down_kernelILj37ELj128EiEvPT1_S1_.has_indirect_call, 0
	.section	.AMDGPU.csdata,"",@progbits
; Kernel info:
; codeLenInByte = 4220
; TotalNumSgprs: 7
; NumVgprs: 8
; ScratchSize: 0
; MemoryBound: 1
; FloatMode: 240
; IeeeMode: 1
; LDSByteSize: 148 bytes/workgroup (compile time only)
; SGPRBlocks: 0
; VGPRBlocks: 0
; NumSGPRsForWavesPerEU: 7
; NumVGPRsForWavesPerEU: 8
; NamedBarCnt: 0
; Occupancy: 16
; WaveLimiterHint : 1
; COMPUTE_PGM_RSRC2:SCRATCH_EN: 0
; COMPUTE_PGM_RSRC2:USER_SGPR: 2
; COMPUTE_PGM_RSRC2:TRAP_HANDLER: 0
; COMPUTE_PGM_RSRC2:TGID_X_EN: 1
; COMPUTE_PGM_RSRC2:TGID_Y_EN: 0
; COMPUTE_PGM_RSRC2:TGID_Z_EN: 0
; COMPUTE_PGM_RSRC2:TIDIG_COMP_CNT: 0
	.section	.text._Z19shuffle_down_kernelILj65ELj128EiEvPT1_S1_,"axG",@progbits,_Z19shuffle_down_kernelILj65ELj128EiEvPT1_S1_,comdat
	.protected	_Z19shuffle_down_kernelILj65ELj128EiEvPT1_S1_ ; -- Begin function _Z19shuffle_down_kernelILj65ELj128EiEvPT1_S1_
	.globl	_Z19shuffle_down_kernelILj65ELj128EiEvPT1_S1_
	.p2align	8
	.type	_Z19shuffle_down_kernelILj65ELj128EiEvPT1_S1_,@function
_Z19shuffle_down_kernelILj65ELj128EiEvPT1_S1_: ; @_Z19shuffle_down_kernelILj65ELj128EiEvPT1_S1_
; %bb.0:
	s_bfe_u32 s4, ttmp6, 0x4000c
	s_and_b32 s5, ttmp6, 15
	s_add_co_i32 s4, s4, 1
	s_load_b128 s[0:3], s[0:1], 0x0
	s_mul_i32 s4, ttmp9, s4
	s_getreg_b32 s6, hwreg(HW_REG_IB_STS2, 6, 4)
	s_add_co_i32 s5, s5, s4
	s_cmp_eq_u32 s6, 0
	v_mov_b32_e32 v5, 0
	s_cselect_b32 s4, ttmp9, s5
	s_delay_alu instid0(SALU_CYCLE_1) | instskip(NEXT) | instid1(SALU_CYCLE_1)
	s_mulk_i32 s4, 0x41
	v_add_lshl_u32 v4, s4, v0, 7
	s_delay_alu instid0(VALU_DEP_1) | instskip(SKIP_1) | instid1(VALU_DEP_1)
	v_lshlrev_b64_e32 v[2:3], 2, v[4:5]
	s_wait_kmcnt 0x0
	v_add_nc_u64_e32 v[6:7], s[0:1], v[2:3]
	global_load_b64 v[6:7], v[6:7], off
	s_wait_loadcnt 0x0
	s_clause 0x1
	global_store_b32 v4, v7, s[2:3] scale_offset
	global_load_b32 v1, v4, s[0:1] offset:8 scale_offset
	s_wait_loadcnt 0x0
	s_clause 0x1
	global_store_b32 v4, v1, s[2:3] offset:4 scale_offset
	global_load_b32 v1, v4, s[0:1] offset:12 scale_offset
	s_wait_loadcnt 0x0
	s_clause 0x1
	global_store_b32 v4, v1, s[2:3] offset:8 scale_offset
	;; [unrolled: 4-line block ×125, first 2 shown]
	global_load_b32 v5, v4, s[0:1] offset:508 scale_offset
	s_wait_xcnt 0x1
	v_lshlrev_b32_e32 v1, 2, v0
	s_wait_xcnt 0x0
	s_mov_b32 s0, exec_lo
	ds_store_b32 v1, v6
	s_wait_loadcnt 0x0
	global_store_b32 v4, v5, s[2:3] offset:504 scale_offset
	s_wait_storecnt_dscnt 0x0
	s_barrier_signal -1
	s_barrier_wait -1
	s_wait_xcnt 0x0
	v_cmpx_gt_u32_e32 64, v0
	s_cbranch_execz .LBB63_2
; %bb.1:
	ds_load_b32 v4, v1 offset:4
	v_add_nc_u64_e32 v[0:1], s[2:3], v[2:3]
	s_wait_dscnt 0x0
	global_store_b32 v[0:1], v4, off offset:508
.LBB63_2:
	s_endpgm
	.section	.rodata,"a",@progbits
	.p2align	6, 0x0
	.amdhsa_kernel _Z19shuffle_down_kernelILj65ELj128EiEvPT1_S1_
		.amdhsa_group_segment_fixed_size 260
		.amdhsa_private_segment_fixed_size 0
		.amdhsa_kernarg_size 16
		.amdhsa_user_sgpr_count 2
		.amdhsa_user_sgpr_dispatch_ptr 0
		.amdhsa_user_sgpr_queue_ptr 0
		.amdhsa_user_sgpr_kernarg_segment_ptr 1
		.amdhsa_user_sgpr_dispatch_id 0
		.amdhsa_user_sgpr_kernarg_preload_length 0
		.amdhsa_user_sgpr_kernarg_preload_offset 0
		.amdhsa_user_sgpr_private_segment_size 0
		.amdhsa_wavefront_size32 1
		.amdhsa_uses_dynamic_stack 0
		.amdhsa_enable_private_segment 0
		.amdhsa_system_sgpr_workgroup_id_x 1
		.amdhsa_system_sgpr_workgroup_id_y 0
		.amdhsa_system_sgpr_workgroup_id_z 0
		.amdhsa_system_sgpr_workgroup_info 0
		.amdhsa_system_vgpr_workitem_id 0
		.amdhsa_next_free_vgpr 8
		.amdhsa_next_free_sgpr 7
		.amdhsa_named_barrier_count 0
		.amdhsa_reserve_vcc 0
		.amdhsa_float_round_mode_32 0
		.amdhsa_float_round_mode_16_64 0
		.amdhsa_float_denorm_mode_32 3
		.amdhsa_float_denorm_mode_16_64 3
		.amdhsa_fp16_overflow 0
		.amdhsa_memory_ordered 1
		.amdhsa_forward_progress 1
		.amdhsa_inst_pref_size 33
		.amdhsa_round_robin_scheduling 0
		.amdhsa_exception_fp_ieee_invalid_op 0
		.amdhsa_exception_fp_denorm_src 0
		.amdhsa_exception_fp_ieee_div_zero 0
		.amdhsa_exception_fp_ieee_overflow 0
		.amdhsa_exception_fp_ieee_underflow 0
		.amdhsa_exception_fp_ieee_inexact 0
		.amdhsa_exception_int_div_zero 0
	.end_amdhsa_kernel
	.section	.text._Z19shuffle_down_kernelILj65ELj128EiEvPT1_S1_,"axG",@progbits,_Z19shuffle_down_kernelILj65ELj128EiEvPT1_S1_,comdat
.Lfunc_end63:
	.size	_Z19shuffle_down_kernelILj65ELj128EiEvPT1_S1_, .Lfunc_end63-_Z19shuffle_down_kernelILj65ELj128EiEvPT1_S1_
                                        ; -- End function
	.set _Z19shuffle_down_kernelILj65ELj128EiEvPT1_S1_.num_vgpr, 8
	.set _Z19shuffle_down_kernelILj65ELj128EiEvPT1_S1_.num_agpr, 0
	.set _Z19shuffle_down_kernelILj65ELj128EiEvPT1_S1_.numbered_sgpr, 7
	.set _Z19shuffle_down_kernelILj65ELj128EiEvPT1_S1_.num_named_barrier, 0
	.set _Z19shuffle_down_kernelILj65ELj128EiEvPT1_S1_.private_seg_size, 0
	.set _Z19shuffle_down_kernelILj65ELj128EiEvPT1_S1_.uses_vcc, 0
	.set _Z19shuffle_down_kernelILj65ELj128EiEvPT1_S1_.uses_flat_scratch, 0
	.set _Z19shuffle_down_kernelILj65ELj128EiEvPT1_S1_.has_dyn_sized_stack, 0
	.set _Z19shuffle_down_kernelILj65ELj128EiEvPT1_S1_.has_recursion, 0
	.set _Z19shuffle_down_kernelILj65ELj128EiEvPT1_S1_.has_indirect_call, 0
	.section	.AMDGPU.csdata,"",@progbits
; Kernel info:
; codeLenInByte = 4220
; TotalNumSgprs: 7
; NumVgprs: 8
; ScratchSize: 0
; MemoryBound: 1
; FloatMode: 240
; IeeeMode: 1
; LDSByteSize: 260 bytes/workgroup (compile time only)
; SGPRBlocks: 0
; VGPRBlocks: 0
; NumSGPRsForWavesPerEU: 7
; NumVGPRsForWavesPerEU: 8
; NamedBarCnt: 0
; Occupancy: 16
; WaveLimiterHint : 1
; COMPUTE_PGM_RSRC2:SCRATCH_EN: 0
; COMPUTE_PGM_RSRC2:USER_SGPR: 2
; COMPUTE_PGM_RSRC2:TRAP_HANDLER: 0
; COMPUTE_PGM_RSRC2:TGID_X_EN: 1
; COMPUTE_PGM_RSRC2:TGID_Y_EN: 0
; COMPUTE_PGM_RSRC2:TGID_Z_EN: 0
; COMPUTE_PGM_RSRC2:TIDIG_COMP_CNT: 0
	.section	.text._Z19shuffle_down_kernelILj512ELj128EiEvPT1_S1_,"axG",@progbits,_Z19shuffle_down_kernelILj512ELj128EiEvPT1_S1_,comdat
	.protected	_Z19shuffle_down_kernelILj512ELj128EiEvPT1_S1_ ; -- Begin function _Z19shuffle_down_kernelILj512ELj128EiEvPT1_S1_
	.globl	_Z19shuffle_down_kernelILj512ELj128EiEvPT1_S1_
	.p2align	8
	.type	_Z19shuffle_down_kernelILj512ELj128EiEvPT1_S1_,@function
_Z19shuffle_down_kernelILj512ELj128EiEvPT1_S1_: ; @_Z19shuffle_down_kernelILj512ELj128EiEvPT1_S1_
; %bb.0:
	s_bfe_u32 s4, ttmp6, 0x4000c
	s_load_b128 s[0:3], s[0:1], 0x0
	s_add_co_i32 s4, s4, 1
	s_and_b32 s5, ttmp6, 15
	s_mul_i32 s4, ttmp9, s4
	s_getreg_b32 s6, hwreg(HW_REG_IB_STS2, 6, 4)
	v_dual_lshlrev_b32 v1, 7, v0 :: v_dual_mov_b32 v5, 0
	s_add_co_i32 s5, s5, s4
	s_cmp_eq_u32 s6, 0
	s_cselect_b32 s4, ttmp9, s5
	s_delay_alu instid0(VALU_DEP_1) | instid1(SALU_CYCLE_1)
	v_lshl_or_b32 v4, s4, 16, v1
	s_delay_alu instid0(VALU_DEP_1) | instskip(SKIP_1) | instid1(VALU_DEP_1)
	v_lshlrev_b64_e32 v[2:3], 2, v[4:5]
	s_wait_kmcnt 0x0
	v_add_nc_u64_e32 v[6:7], s[0:1], v[2:3]
	global_load_b64 v[6:7], v[6:7], off
	s_wait_loadcnt 0x0
	s_clause 0x1
	global_store_b32 v4, v7, s[2:3] scale_offset
	global_load_b32 v1, v4, s[0:1] offset:8 scale_offset
	s_wait_loadcnt 0x0
	s_clause 0x1
	global_store_b32 v4, v1, s[2:3] offset:4 scale_offset
	global_load_b32 v1, v4, s[0:1] offset:12 scale_offset
	s_wait_loadcnt 0x0
	s_clause 0x1
	global_store_b32 v4, v1, s[2:3] offset:8 scale_offset
	;; [unrolled: 4-line block ×125, first 2 shown]
	global_load_b32 v5, v4, s[0:1] offset:508 scale_offset
	s_wait_xcnt 0x1
	v_lshlrev_b32_e32 v1, 2, v0
	s_wait_xcnt 0x0
	s_mov_b32 s0, exec_lo
	ds_store_b32 v1, v6
	s_wait_loadcnt 0x0
	global_store_b32 v4, v5, s[2:3] offset:504 scale_offset
	s_wait_storecnt_dscnt 0x0
	s_barrier_signal -1
	s_barrier_wait -1
	s_wait_xcnt 0x0
	v_cmpx_gt_u32_e32 0x1ff, v0
	s_cbranch_execz .LBB64_2
; %bb.1:
	ds_load_b32 v4, v1 offset:4
	v_add_nc_u64_e32 v[0:1], s[2:3], v[2:3]
	s_wait_dscnt 0x0
	global_store_b32 v[0:1], v4, off offset:508
.LBB64_2:
	s_endpgm
	.section	.rodata,"a",@progbits
	.p2align	6, 0x0
	.amdhsa_kernel _Z19shuffle_down_kernelILj512ELj128EiEvPT1_S1_
		.amdhsa_group_segment_fixed_size 2048
		.amdhsa_private_segment_fixed_size 0
		.amdhsa_kernarg_size 16
		.amdhsa_user_sgpr_count 2
		.amdhsa_user_sgpr_dispatch_ptr 0
		.amdhsa_user_sgpr_queue_ptr 0
		.amdhsa_user_sgpr_kernarg_segment_ptr 1
		.amdhsa_user_sgpr_dispatch_id 0
		.amdhsa_user_sgpr_kernarg_preload_length 0
		.amdhsa_user_sgpr_kernarg_preload_offset 0
		.amdhsa_user_sgpr_private_segment_size 0
		.amdhsa_wavefront_size32 1
		.amdhsa_uses_dynamic_stack 0
		.amdhsa_enable_private_segment 0
		.amdhsa_system_sgpr_workgroup_id_x 1
		.amdhsa_system_sgpr_workgroup_id_y 0
		.amdhsa_system_sgpr_workgroup_id_z 0
		.amdhsa_system_sgpr_workgroup_info 0
		.amdhsa_system_vgpr_workitem_id 0
		.amdhsa_next_free_vgpr 8
		.amdhsa_next_free_sgpr 7
		.amdhsa_named_barrier_count 0
		.amdhsa_reserve_vcc 0
		.amdhsa_float_round_mode_32 0
		.amdhsa_float_round_mode_16_64 0
		.amdhsa_float_denorm_mode_32 3
		.amdhsa_float_denorm_mode_16_64 3
		.amdhsa_fp16_overflow 0
		.amdhsa_memory_ordered 1
		.amdhsa_forward_progress 1
		.amdhsa_inst_pref_size 34
		.amdhsa_round_robin_scheduling 0
		.amdhsa_exception_fp_ieee_invalid_op 0
		.amdhsa_exception_fp_denorm_src 0
		.amdhsa_exception_fp_ieee_div_zero 0
		.amdhsa_exception_fp_ieee_overflow 0
		.amdhsa_exception_fp_ieee_underflow 0
		.amdhsa_exception_fp_ieee_inexact 0
		.amdhsa_exception_int_div_zero 0
	.end_amdhsa_kernel
	.section	.text._Z19shuffle_down_kernelILj512ELj128EiEvPT1_S1_,"axG",@progbits,_Z19shuffle_down_kernelILj512ELj128EiEvPT1_S1_,comdat
.Lfunc_end64:
	.size	_Z19shuffle_down_kernelILj512ELj128EiEvPT1_S1_, .Lfunc_end64-_Z19shuffle_down_kernelILj512ELj128EiEvPT1_S1_
                                        ; -- End function
	.set _Z19shuffle_down_kernelILj512ELj128EiEvPT1_S1_.num_vgpr, 8
	.set _Z19shuffle_down_kernelILj512ELj128EiEvPT1_S1_.num_agpr, 0
	.set _Z19shuffle_down_kernelILj512ELj128EiEvPT1_S1_.numbered_sgpr, 7
	.set _Z19shuffle_down_kernelILj512ELj128EiEvPT1_S1_.num_named_barrier, 0
	.set _Z19shuffle_down_kernelILj512ELj128EiEvPT1_S1_.private_seg_size, 0
	.set _Z19shuffle_down_kernelILj512ELj128EiEvPT1_S1_.uses_vcc, 0
	.set _Z19shuffle_down_kernelILj512ELj128EiEvPT1_S1_.uses_flat_scratch, 0
	.set _Z19shuffle_down_kernelILj512ELj128EiEvPT1_S1_.has_dyn_sized_stack, 0
	.set _Z19shuffle_down_kernelILj512ELj128EiEvPT1_S1_.has_recursion, 0
	.set _Z19shuffle_down_kernelILj512ELj128EiEvPT1_S1_.has_indirect_call, 0
	.section	.AMDGPU.csdata,"",@progbits
; Kernel info:
; codeLenInByte = 4228
; TotalNumSgprs: 7
; NumVgprs: 8
; ScratchSize: 0
; MemoryBound: 1
; FloatMode: 240
; IeeeMode: 1
; LDSByteSize: 2048 bytes/workgroup (compile time only)
; SGPRBlocks: 0
; VGPRBlocks: 0
; NumSGPRsForWavesPerEU: 7
; NumVGPRsForWavesPerEU: 8
; NamedBarCnt: 0
; Occupancy: 16
; WaveLimiterHint : 1
; COMPUTE_PGM_RSRC2:SCRATCH_EN: 0
; COMPUTE_PGM_RSRC2:USER_SGPR: 2
; COMPUTE_PGM_RSRC2:TRAP_HANDLER: 0
; COMPUTE_PGM_RSRC2:TGID_X_EN: 1
; COMPUTE_PGM_RSRC2:TGID_Y_EN: 0
; COMPUTE_PGM_RSRC2:TGID_Z_EN: 0
; COMPUTE_PGM_RSRC2:TIDIG_COMP_CNT: 0
	.section	.text._Z19shuffle_down_kernelILj256ELj128EiEvPT1_S1_,"axG",@progbits,_Z19shuffle_down_kernelILj256ELj128EiEvPT1_S1_,comdat
	.protected	_Z19shuffle_down_kernelILj256ELj128EiEvPT1_S1_ ; -- Begin function _Z19shuffle_down_kernelILj256ELj128EiEvPT1_S1_
	.globl	_Z19shuffle_down_kernelILj256ELj128EiEvPT1_S1_
	.p2align	8
	.type	_Z19shuffle_down_kernelILj256ELj128EiEvPT1_S1_,@function
_Z19shuffle_down_kernelILj256ELj128EiEvPT1_S1_: ; @_Z19shuffle_down_kernelILj256ELj128EiEvPT1_S1_
; %bb.0:
	s_bfe_u32 s4, ttmp6, 0x4000c
	s_load_b128 s[0:3], s[0:1], 0x0
	s_add_co_i32 s4, s4, 1
	s_and_b32 s5, ttmp6, 15
	s_mul_i32 s4, ttmp9, s4
	s_getreg_b32 s6, hwreg(HW_REG_IB_STS2, 6, 4)
	v_dual_lshlrev_b32 v1, 7, v0 :: v_dual_mov_b32 v5, 0
	s_add_co_i32 s5, s5, s4
	s_cmp_eq_u32 s6, 0
	s_cselect_b32 s4, ttmp9, s5
	s_delay_alu instid0(VALU_DEP_1) | instid1(SALU_CYCLE_1)
	v_lshl_or_b32 v4, s4, 15, v1
	s_delay_alu instid0(VALU_DEP_1) | instskip(SKIP_1) | instid1(VALU_DEP_1)
	v_lshlrev_b64_e32 v[2:3], 2, v[4:5]
	s_wait_kmcnt 0x0
	v_add_nc_u64_e32 v[6:7], s[0:1], v[2:3]
	global_load_b64 v[6:7], v[6:7], off
	s_wait_loadcnt 0x0
	s_clause 0x1
	global_store_b32 v4, v7, s[2:3] scale_offset
	global_load_b32 v1, v4, s[0:1] offset:8 scale_offset
	s_wait_loadcnt 0x0
	s_clause 0x1
	global_store_b32 v4, v1, s[2:3] offset:4 scale_offset
	global_load_b32 v1, v4, s[0:1] offset:12 scale_offset
	s_wait_loadcnt 0x0
	s_clause 0x1
	global_store_b32 v4, v1, s[2:3] offset:8 scale_offset
	;; [unrolled: 4-line block ×125, first 2 shown]
	global_load_b32 v5, v4, s[0:1] offset:508 scale_offset
	s_wait_xcnt 0x1
	v_lshlrev_b32_e32 v1, 2, v0
	s_wait_xcnt 0x0
	s_mov_b32 s0, exec_lo
	ds_store_b32 v1, v6
	s_wait_loadcnt 0x0
	global_store_b32 v4, v5, s[2:3] offset:504 scale_offset
	s_wait_storecnt_dscnt 0x0
	s_barrier_signal -1
	s_barrier_wait -1
	s_wait_xcnt 0x0
	v_cmpx_gt_u32_e32 0xff, v0
	s_cbranch_execz .LBB65_2
; %bb.1:
	ds_load_b32 v4, v1 offset:4
	v_add_nc_u64_e32 v[0:1], s[2:3], v[2:3]
	s_wait_dscnt 0x0
	global_store_b32 v[0:1], v4, off offset:508
.LBB65_2:
	s_endpgm
	.section	.rodata,"a",@progbits
	.p2align	6, 0x0
	.amdhsa_kernel _Z19shuffle_down_kernelILj256ELj128EiEvPT1_S1_
		.amdhsa_group_segment_fixed_size 1024
		.amdhsa_private_segment_fixed_size 0
		.amdhsa_kernarg_size 16
		.amdhsa_user_sgpr_count 2
		.amdhsa_user_sgpr_dispatch_ptr 0
		.amdhsa_user_sgpr_queue_ptr 0
		.amdhsa_user_sgpr_kernarg_segment_ptr 1
		.amdhsa_user_sgpr_dispatch_id 0
		.amdhsa_user_sgpr_kernarg_preload_length 0
		.amdhsa_user_sgpr_kernarg_preload_offset 0
		.amdhsa_user_sgpr_private_segment_size 0
		.amdhsa_wavefront_size32 1
		.amdhsa_uses_dynamic_stack 0
		.amdhsa_enable_private_segment 0
		.amdhsa_system_sgpr_workgroup_id_x 1
		.amdhsa_system_sgpr_workgroup_id_y 0
		.amdhsa_system_sgpr_workgroup_id_z 0
		.amdhsa_system_sgpr_workgroup_info 0
		.amdhsa_system_vgpr_workitem_id 0
		.amdhsa_next_free_vgpr 8
		.amdhsa_next_free_sgpr 7
		.amdhsa_named_barrier_count 0
		.amdhsa_reserve_vcc 0
		.amdhsa_float_round_mode_32 0
		.amdhsa_float_round_mode_16_64 0
		.amdhsa_float_denorm_mode_32 3
		.amdhsa_float_denorm_mode_16_64 3
		.amdhsa_fp16_overflow 0
		.amdhsa_memory_ordered 1
		.amdhsa_forward_progress 1
		.amdhsa_inst_pref_size 34
		.amdhsa_round_robin_scheduling 0
		.amdhsa_exception_fp_ieee_invalid_op 0
		.amdhsa_exception_fp_denorm_src 0
		.amdhsa_exception_fp_ieee_div_zero 0
		.amdhsa_exception_fp_ieee_overflow 0
		.amdhsa_exception_fp_ieee_underflow 0
		.amdhsa_exception_fp_ieee_inexact 0
		.amdhsa_exception_int_div_zero 0
	.end_amdhsa_kernel
	.section	.text._Z19shuffle_down_kernelILj256ELj128EiEvPT1_S1_,"axG",@progbits,_Z19shuffle_down_kernelILj256ELj128EiEvPT1_S1_,comdat
.Lfunc_end65:
	.size	_Z19shuffle_down_kernelILj256ELj128EiEvPT1_S1_, .Lfunc_end65-_Z19shuffle_down_kernelILj256ELj128EiEvPT1_S1_
                                        ; -- End function
	.set _Z19shuffle_down_kernelILj256ELj128EiEvPT1_S1_.num_vgpr, 8
	.set _Z19shuffle_down_kernelILj256ELj128EiEvPT1_S1_.num_agpr, 0
	.set _Z19shuffle_down_kernelILj256ELj128EiEvPT1_S1_.numbered_sgpr, 7
	.set _Z19shuffle_down_kernelILj256ELj128EiEvPT1_S1_.num_named_barrier, 0
	.set _Z19shuffle_down_kernelILj256ELj128EiEvPT1_S1_.private_seg_size, 0
	.set _Z19shuffle_down_kernelILj256ELj128EiEvPT1_S1_.uses_vcc, 0
	.set _Z19shuffle_down_kernelILj256ELj128EiEvPT1_S1_.uses_flat_scratch, 0
	.set _Z19shuffle_down_kernelILj256ELj128EiEvPT1_S1_.has_dyn_sized_stack, 0
	.set _Z19shuffle_down_kernelILj256ELj128EiEvPT1_S1_.has_recursion, 0
	.set _Z19shuffle_down_kernelILj256ELj128EiEvPT1_S1_.has_indirect_call, 0
	.section	.AMDGPU.csdata,"",@progbits
; Kernel info:
; codeLenInByte = 4228
; TotalNumSgprs: 7
; NumVgprs: 8
; ScratchSize: 0
; MemoryBound: 1
; FloatMode: 240
; IeeeMode: 1
; LDSByteSize: 1024 bytes/workgroup (compile time only)
; SGPRBlocks: 0
; VGPRBlocks: 0
; NumSGPRsForWavesPerEU: 7
; NumVGPRsForWavesPerEU: 8
; NamedBarCnt: 0
; Occupancy: 16
; WaveLimiterHint : 1
; COMPUTE_PGM_RSRC2:SCRATCH_EN: 0
; COMPUTE_PGM_RSRC2:USER_SGPR: 2
; COMPUTE_PGM_RSRC2:TRAP_HANDLER: 0
; COMPUTE_PGM_RSRC2:TGID_X_EN: 1
; COMPUTE_PGM_RSRC2:TGID_Y_EN: 0
; COMPUTE_PGM_RSRC2:TGID_Z_EN: 0
; COMPUTE_PGM_RSRC2:TIDIG_COMP_CNT: 0
	.section	.text._Z19shuffle_down_kernelILj128ELj128EiEvPT1_S1_,"axG",@progbits,_Z19shuffle_down_kernelILj128ELj128EiEvPT1_S1_,comdat
	.protected	_Z19shuffle_down_kernelILj128ELj128EiEvPT1_S1_ ; -- Begin function _Z19shuffle_down_kernelILj128ELj128EiEvPT1_S1_
	.globl	_Z19shuffle_down_kernelILj128ELj128EiEvPT1_S1_
	.p2align	8
	.type	_Z19shuffle_down_kernelILj128ELj128EiEvPT1_S1_,@function
_Z19shuffle_down_kernelILj128ELj128EiEvPT1_S1_: ; @_Z19shuffle_down_kernelILj128ELj128EiEvPT1_S1_
; %bb.0:
	s_bfe_u32 s4, ttmp6, 0x4000c
	s_load_b128 s[0:3], s[0:1], 0x0
	s_add_co_i32 s4, s4, 1
	s_and_b32 s5, ttmp6, 15
	s_mul_i32 s4, ttmp9, s4
	s_getreg_b32 s6, hwreg(HW_REG_IB_STS2, 6, 4)
	v_dual_lshlrev_b32 v1, 7, v0 :: v_dual_mov_b32 v5, 0
	s_add_co_i32 s5, s5, s4
	s_cmp_eq_u32 s6, 0
	s_cselect_b32 s4, ttmp9, s5
	s_delay_alu instid0(VALU_DEP_1) | instid1(SALU_CYCLE_1)
	v_lshl_or_b32 v4, s4, 14, v1
	s_delay_alu instid0(VALU_DEP_1) | instskip(SKIP_1) | instid1(VALU_DEP_1)
	v_lshlrev_b64_e32 v[2:3], 2, v[4:5]
	s_wait_kmcnt 0x0
	v_add_nc_u64_e32 v[6:7], s[0:1], v[2:3]
	global_load_b64 v[6:7], v[6:7], off
	s_wait_loadcnt 0x0
	s_clause 0x1
	global_store_b32 v4, v7, s[2:3] scale_offset
	global_load_b32 v1, v4, s[0:1] offset:8 scale_offset
	s_wait_loadcnt 0x0
	s_clause 0x1
	global_store_b32 v4, v1, s[2:3] offset:4 scale_offset
	global_load_b32 v1, v4, s[0:1] offset:12 scale_offset
	s_wait_loadcnt 0x0
	s_clause 0x1
	global_store_b32 v4, v1, s[2:3] offset:8 scale_offset
	;; [unrolled: 4-line block ×125, first 2 shown]
	global_load_b32 v5, v4, s[0:1] offset:508 scale_offset
	s_wait_xcnt 0x1
	v_lshlrev_b32_e32 v1, 2, v0
	s_wait_xcnt 0x0
	s_mov_b32 s0, exec_lo
	ds_store_b32 v1, v6
	s_wait_loadcnt 0x0
	global_store_b32 v4, v5, s[2:3] offset:504 scale_offset
	s_wait_storecnt_dscnt 0x0
	s_barrier_signal -1
	s_barrier_wait -1
	s_wait_xcnt 0x0
	v_cmpx_gt_u32_e32 0x7f, v0
	s_cbranch_execz .LBB66_2
; %bb.1:
	ds_load_b32 v4, v1 offset:4
	v_add_nc_u64_e32 v[0:1], s[2:3], v[2:3]
	s_wait_dscnt 0x0
	global_store_b32 v[0:1], v4, off offset:508
.LBB66_2:
	s_endpgm
	.section	.rodata,"a",@progbits
	.p2align	6, 0x0
	.amdhsa_kernel _Z19shuffle_down_kernelILj128ELj128EiEvPT1_S1_
		.amdhsa_group_segment_fixed_size 512
		.amdhsa_private_segment_fixed_size 0
		.amdhsa_kernarg_size 16
		.amdhsa_user_sgpr_count 2
		.amdhsa_user_sgpr_dispatch_ptr 0
		.amdhsa_user_sgpr_queue_ptr 0
		.amdhsa_user_sgpr_kernarg_segment_ptr 1
		.amdhsa_user_sgpr_dispatch_id 0
		.amdhsa_user_sgpr_kernarg_preload_length 0
		.amdhsa_user_sgpr_kernarg_preload_offset 0
		.amdhsa_user_sgpr_private_segment_size 0
		.amdhsa_wavefront_size32 1
		.amdhsa_uses_dynamic_stack 0
		.amdhsa_enable_private_segment 0
		.amdhsa_system_sgpr_workgroup_id_x 1
		.amdhsa_system_sgpr_workgroup_id_y 0
		.amdhsa_system_sgpr_workgroup_id_z 0
		.amdhsa_system_sgpr_workgroup_info 0
		.amdhsa_system_vgpr_workitem_id 0
		.amdhsa_next_free_vgpr 8
		.amdhsa_next_free_sgpr 7
		.amdhsa_named_barrier_count 0
		.amdhsa_reserve_vcc 0
		.amdhsa_float_round_mode_32 0
		.amdhsa_float_round_mode_16_64 0
		.amdhsa_float_denorm_mode_32 3
		.amdhsa_float_denorm_mode_16_64 3
		.amdhsa_fp16_overflow 0
		.amdhsa_memory_ordered 1
		.amdhsa_forward_progress 1
		.amdhsa_inst_pref_size 34
		.amdhsa_round_robin_scheduling 0
		.amdhsa_exception_fp_ieee_invalid_op 0
		.amdhsa_exception_fp_denorm_src 0
		.amdhsa_exception_fp_ieee_div_zero 0
		.amdhsa_exception_fp_ieee_overflow 0
		.amdhsa_exception_fp_ieee_underflow 0
		.amdhsa_exception_fp_ieee_inexact 0
		.amdhsa_exception_int_div_zero 0
	.end_amdhsa_kernel
	.section	.text._Z19shuffle_down_kernelILj128ELj128EiEvPT1_S1_,"axG",@progbits,_Z19shuffle_down_kernelILj128ELj128EiEvPT1_S1_,comdat
.Lfunc_end66:
	.size	_Z19shuffle_down_kernelILj128ELj128EiEvPT1_S1_, .Lfunc_end66-_Z19shuffle_down_kernelILj128ELj128EiEvPT1_S1_
                                        ; -- End function
	.set _Z19shuffle_down_kernelILj128ELj128EiEvPT1_S1_.num_vgpr, 8
	.set _Z19shuffle_down_kernelILj128ELj128EiEvPT1_S1_.num_agpr, 0
	.set _Z19shuffle_down_kernelILj128ELj128EiEvPT1_S1_.numbered_sgpr, 7
	.set _Z19shuffle_down_kernelILj128ELj128EiEvPT1_S1_.num_named_barrier, 0
	.set _Z19shuffle_down_kernelILj128ELj128EiEvPT1_S1_.private_seg_size, 0
	.set _Z19shuffle_down_kernelILj128ELj128EiEvPT1_S1_.uses_vcc, 0
	.set _Z19shuffle_down_kernelILj128ELj128EiEvPT1_S1_.uses_flat_scratch, 0
	.set _Z19shuffle_down_kernelILj128ELj128EiEvPT1_S1_.has_dyn_sized_stack, 0
	.set _Z19shuffle_down_kernelILj128ELj128EiEvPT1_S1_.has_recursion, 0
	.set _Z19shuffle_down_kernelILj128ELj128EiEvPT1_S1_.has_indirect_call, 0
	.section	.AMDGPU.csdata,"",@progbits
; Kernel info:
; codeLenInByte = 4228
; TotalNumSgprs: 7
; NumVgprs: 8
; ScratchSize: 0
; MemoryBound: 1
; FloatMode: 240
; IeeeMode: 1
; LDSByteSize: 512 bytes/workgroup (compile time only)
; SGPRBlocks: 0
; VGPRBlocks: 0
; NumSGPRsForWavesPerEU: 7
; NumVGPRsForWavesPerEU: 8
; NamedBarCnt: 0
; Occupancy: 16
; WaveLimiterHint : 1
; COMPUTE_PGM_RSRC2:SCRATCH_EN: 0
; COMPUTE_PGM_RSRC2:USER_SGPR: 2
; COMPUTE_PGM_RSRC2:TRAP_HANDLER: 0
; COMPUTE_PGM_RSRC2:TGID_X_EN: 1
; COMPUTE_PGM_RSRC2:TGID_Y_EN: 0
; COMPUTE_PGM_RSRC2:TGID_Z_EN: 0
; COMPUTE_PGM_RSRC2:TIDIG_COMP_CNT: 0
	.section	.text._Z19shuffle_down_kernelILj64ELj128EiEvPT1_S1_,"axG",@progbits,_Z19shuffle_down_kernelILj64ELj128EiEvPT1_S1_,comdat
	.protected	_Z19shuffle_down_kernelILj64ELj128EiEvPT1_S1_ ; -- Begin function _Z19shuffle_down_kernelILj64ELj128EiEvPT1_S1_
	.globl	_Z19shuffle_down_kernelILj64ELj128EiEvPT1_S1_
	.p2align	8
	.type	_Z19shuffle_down_kernelILj64ELj128EiEvPT1_S1_,@function
_Z19shuffle_down_kernelILj64ELj128EiEvPT1_S1_: ; @_Z19shuffle_down_kernelILj64ELj128EiEvPT1_S1_
; %bb.0:
	s_bfe_u32 s4, ttmp6, 0x4000c
	s_load_b128 s[0:3], s[0:1], 0x0
	s_add_co_i32 s4, s4, 1
	s_and_b32 s5, ttmp6, 15
	s_mul_i32 s4, ttmp9, s4
	s_getreg_b32 s6, hwreg(HW_REG_IB_STS2, 6, 4)
	v_dual_lshlrev_b32 v1, 7, v0 :: v_dual_mov_b32 v5, 0
	s_add_co_i32 s5, s5, s4
	s_cmp_eq_u32 s6, 0
	s_cselect_b32 s4, ttmp9, s5
	s_delay_alu instid0(VALU_DEP_1) | instid1(SALU_CYCLE_1)
	v_lshl_or_b32 v4, s4, 13, v1
	s_delay_alu instid0(VALU_DEP_1) | instskip(SKIP_1) | instid1(VALU_DEP_1)
	v_lshlrev_b64_e32 v[2:3], 2, v[4:5]
	s_wait_kmcnt 0x0
	v_add_nc_u64_e32 v[6:7], s[0:1], v[2:3]
	global_load_b64 v[6:7], v[6:7], off
	s_wait_loadcnt 0x0
	s_clause 0x1
	global_store_b32 v4, v7, s[2:3] scale_offset
	global_load_b32 v1, v4, s[0:1] offset:8 scale_offset
	s_wait_loadcnt 0x0
	s_clause 0x1
	global_store_b32 v4, v1, s[2:3] offset:4 scale_offset
	global_load_b32 v1, v4, s[0:1] offset:12 scale_offset
	s_wait_loadcnt 0x0
	s_clause 0x1
	global_store_b32 v4, v1, s[2:3] offset:8 scale_offset
	;; [unrolled: 4-line block ×125, first 2 shown]
	global_load_b32 v5, v4, s[0:1] offset:508 scale_offset
	s_wait_xcnt 0x1
	v_lshlrev_b32_e32 v1, 2, v0
	s_wait_xcnt 0x0
	s_mov_b32 s0, exec_lo
	ds_store_b32 v1, v6
	s_wait_loadcnt 0x0
	global_store_b32 v4, v5, s[2:3] offset:504 scale_offset
	s_wait_storecnt_dscnt 0x0
	s_barrier_signal -1
	s_barrier_wait -1
	s_wait_xcnt 0x0
	v_cmpx_gt_u32_e32 63, v0
	s_cbranch_execz .LBB67_2
; %bb.1:
	ds_load_b32 v4, v1 offset:4
	v_add_nc_u64_e32 v[0:1], s[2:3], v[2:3]
	s_wait_dscnt 0x0
	global_store_b32 v[0:1], v4, off offset:508
.LBB67_2:
	s_endpgm
	.section	.rodata,"a",@progbits
	.p2align	6, 0x0
	.amdhsa_kernel _Z19shuffle_down_kernelILj64ELj128EiEvPT1_S1_
		.amdhsa_group_segment_fixed_size 256
		.amdhsa_private_segment_fixed_size 0
		.amdhsa_kernarg_size 16
		.amdhsa_user_sgpr_count 2
		.amdhsa_user_sgpr_dispatch_ptr 0
		.amdhsa_user_sgpr_queue_ptr 0
		.amdhsa_user_sgpr_kernarg_segment_ptr 1
		.amdhsa_user_sgpr_dispatch_id 0
		.amdhsa_user_sgpr_kernarg_preload_length 0
		.amdhsa_user_sgpr_kernarg_preload_offset 0
		.amdhsa_user_sgpr_private_segment_size 0
		.amdhsa_wavefront_size32 1
		.amdhsa_uses_dynamic_stack 0
		.amdhsa_enable_private_segment 0
		.amdhsa_system_sgpr_workgroup_id_x 1
		.amdhsa_system_sgpr_workgroup_id_y 0
		.amdhsa_system_sgpr_workgroup_id_z 0
		.amdhsa_system_sgpr_workgroup_info 0
		.amdhsa_system_vgpr_workitem_id 0
		.amdhsa_next_free_vgpr 8
		.amdhsa_next_free_sgpr 7
		.amdhsa_named_barrier_count 0
		.amdhsa_reserve_vcc 0
		.amdhsa_float_round_mode_32 0
		.amdhsa_float_round_mode_16_64 0
		.amdhsa_float_denorm_mode_32 3
		.amdhsa_float_denorm_mode_16_64 3
		.amdhsa_fp16_overflow 0
		.amdhsa_memory_ordered 1
		.amdhsa_forward_progress 1
		.amdhsa_inst_pref_size 33
		.amdhsa_round_robin_scheduling 0
		.amdhsa_exception_fp_ieee_invalid_op 0
		.amdhsa_exception_fp_denorm_src 0
		.amdhsa_exception_fp_ieee_div_zero 0
		.amdhsa_exception_fp_ieee_overflow 0
		.amdhsa_exception_fp_ieee_underflow 0
		.amdhsa_exception_fp_ieee_inexact 0
		.amdhsa_exception_int_div_zero 0
	.end_amdhsa_kernel
	.section	.text._Z19shuffle_down_kernelILj64ELj128EiEvPT1_S1_,"axG",@progbits,_Z19shuffle_down_kernelILj64ELj128EiEvPT1_S1_,comdat
.Lfunc_end67:
	.size	_Z19shuffle_down_kernelILj64ELj128EiEvPT1_S1_, .Lfunc_end67-_Z19shuffle_down_kernelILj64ELj128EiEvPT1_S1_
                                        ; -- End function
	.set _Z19shuffle_down_kernelILj64ELj128EiEvPT1_S1_.num_vgpr, 8
	.set _Z19shuffle_down_kernelILj64ELj128EiEvPT1_S1_.num_agpr, 0
	.set _Z19shuffle_down_kernelILj64ELj128EiEvPT1_S1_.numbered_sgpr, 7
	.set _Z19shuffle_down_kernelILj64ELj128EiEvPT1_S1_.num_named_barrier, 0
	.set _Z19shuffle_down_kernelILj64ELj128EiEvPT1_S1_.private_seg_size, 0
	.set _Z19shuffle_down_kernelILj64ELj128EiEvPT1_S1_.uses_vcc, 0
	.set _Z19shuffle_down_kernelILj64ELj128EiEvPT1_S1_.uses_flat_scratch, 0
	.set _Z19shuffle_down_kernelILj64ELj128EiEvPT1_S1_.has_dyn_sized_stack, 0
	.set _Z19shuffle_down_kernelILj64ELj128EiEvPT1_S1_.has_recursion, 0
	.set _Z19shuffle_down_kernelILj64ELj128EiEvPT1_S1_.has_indirect_call, 0
	.section	.AMDGPU.csdata,"",@progbits
; Kernel info:
; codeLenInByte = 4224
; TotalNumSgprs: 7
; NumVgprs: 8
; ScratchSize: 0
; MemoryBound: 1
; FloatMode: 240
; IeeeMode: 1
; LDSByteSize: 256 bytes/workgroup (compile time only)
; SGPRBlocks: 0
; VGPRBlocks: 0
; NumSGPRsForWavesPerEU: 7
; NumVGPRsForWavesPerEU: 8
; NamedBarCnt: 0
; Occupancy: 16
; WaveLimiterHint : 1
; COMPUTE_PGM_RSRC2:SCRATCH_EN: 0
; COMPUTE_PGM_RSRC2:USER_SGPR: 2
; COMPUTE_PGM_RSRC2:TRAP_HANDLER: 0
; COMPUTE_PGM_RSRC2:TGID_X_EN: 1
; COMPUTE_PGM_RSRC2:TGID_Y_EN: 0
; COMPUTE_PGM_RSRC2:TGID_Z_EN: 0
; COMPUTE_PGM_RSRC2:TIDIG_COMP_CNT: 0
	.section	.AMDGPU.gpr_maximums,"",@progbits
	.set amdgpu.max_num_vgpr, 0
	.set amdgpu.max_num_agpr, 0
	.set amdgpu.max_num_sgpr, 0
	.section	.AMDGPU.csdata,"",@progbits
	.type	__hip_cuid_3a0757799e03023c,@object ; @__hip_cuid_3a0757799e03023c
	.section	.bss,"aw",@nobits
	.globl	__hip_cuid_3a0757799e03023c
__hip_cuid_3a0757799e03023c:
	.byte	0                               ; 0x0
	.size	__hip_cuid_3a0757799e03023c, 1

	.ident	"AMD clang version 22.0.0git (https://github.com/RadeonOpenCompute/llvm-project roc-7.2.4 26084 f58b06dce1f9c15707c5f808fd002e18c2accf7e)"
	.section	".note.GNU-stack","",@progbits
	.addrsig
	.addrsig_sym __hip_cuid_3a0757799e03023c
	.amdgpu_metadata
---
amdhsa.kernels:
  - .args:
      - .address_space:  global
        .offset:         0
        .size:           8
        .value_kind:     global_buffer
      - .address_space:  global
        .offset:         8
        .size:           8
        .value_kind:     global_buffer
      - .offset:         16
        .size:           4
        .value_kind:     by_value
    .group_segment_fixed_size: 64
    .kernarg_segment_align: 8
    .kernarg_segment_size: 20
    .language:       OpenCL C
    .language_version:
      - 2
      - 0
    .max_flat_workgroup_size: 32
    .name:           _Z21shuffle_offset_kernelILj32E12hip_bfloat16EvPT0_S2_i
    .private_segment_fixed_size: 0
    .sgpr_count:     9
    .sgpr_spill_count: 0
    .symbol:         _Z21shuffle_offset_kernelILj32E12hip_bfloat16EvPT0_S2_i.kd
    .uniform_work_group_size: 1
    .uses_dynamic_stack: false
    .vgpr_count:     5
    .vgpr_spill_count: 0
    .wavefront_size: 32
  - .args:
      - .address_space:  global
        .offset:         0
        .size:           8
        .value_kind:     global_buffer
      - .address_space:  global
        .offset:         8
        .size:           8
        .value_kind:     global_buffer
      - .offset:         16
        .size:           4
        .value_kind:     by_value
    .group_segment_fixed_size: 64
    .kernarg_segment_align: 8
    .kernarg_segment_size: 20
    .language:       OpenCL C
    .language_version:
      - 2
      - 0
    .max_flat_workgroup_size: 32
    .name:           _Z21shuffle_offset_kernelILj32E6__halfEvPT0_S2_i
    .private_segment_fixed_size: 0
    .sgpr_count:     9
    .sgpr_spill_count: 0
    .symbol:         _Z21shuffle_offset_kernelILj32E6__halfEvPT0_S2_i.kd
    .uniform_work_group_size: 1
    .uses_dynamic_stack: false
    .vgpr_count:     5
    .vgpr_spill_count: 0
    .wavefront_size: 32
  - .args:
      - .address_space:  global
        .offset:         0
        .size:           8
        .value_kind:     global_buffer
      - .address_space:  global
        .offset:         8
        .size:           8
        .value_kind:     global_buffer
      - .offset:         16
        .size:           4
        .value_kind:     by_value
    .group_segment_fixed_size: 128
    .kernarg_segment_align: 8
    .kernarg_segment_size: 20
    .language:       OpenCL C
    .language_version:
      - 2
      - 0
    .max_flat_workgroup_size: 32
    .name:           _Z21shuffle_offset_kernelILj32EfEvPT0_S1_i
    .private_segment_fixed_size: 0
    .sgpr_count:     9
    .sgpr_spill_count: 0
    .symbol:         _Z21shuffle_offset_kernelILj32EfEvPT0_S1_i.kd
    .uniform_work_group_size: 1
    .uses_dynamic_stack: false
    .vgpr_count:     5
    .vgpr_spill_count: 0
    .wavefront_size: 32
  - .args:
      - .address_space:  global
        .offset:         0
        .size:           8
        .value_kind:     global_buffer
      - .address_space:  global
        .offset:         8
        .size:           8
        .value_kind:     global_buffer
      - .offset:         16
        .size:           4
        .value_kind:     by_value
    .group_segment_fixed_size: 3016
    .kernarg_segment_align: 8
    .kernarg_segment_size: 20
    .language:       OpenCL C
    .language_version:
      - 2
      - 0
    .max_flat_workgroup_size: 377
    .name:           _Z21shuffle_offset_kernelILj377ElEvPT0_S1_i
    .private_segment_fixed_size: 0
    .sgpr_count:     9
    .sgpr_spill_count: 0
    .symbol:         _Z21shuffle_offset_kernelILj377ElEvPT0_S1_i.kd
    .uniform_work_group_size: 1
    .uses_dynamic_stack: false
    .vgpr_count:     6
    .vgpr_spill_count: 0
    .wavefront_size: 32
  - .args:
      - .address_space:  global
        .offset:         0
        .size:           8
        .value_kind:     global_buffer
      - .address_space:  global
        .offset:         8
        .size:           8
        .value_kind:     global_buffer
      - .offset:         16
        .size:           4
        .value_kind:     by_value
    .group_segment_fixed_size: 2048
    .kernarg_segment_align: 8
    .kernarg_segment_size: 20
    .language:       OpenCL C
    .language_version:
      - 2
      - 0
    .max_flat_workgroup_size: 256
    .name:           _Z21shuffle_offset_kernelILj256ElEvPT0_S1_i
    .private_segment_fixed_size: 0
    .sgpr_count:     9
    .sgpr_spill_count: 0
    .symbol:         _Z21shuffle_offset_kernelILj256ElEvPT0_S1_i.kd
    .uniform_work_group_size: 1
    .uses_dynamic_stack: false
    .vgpr_count:     6
    .vgpr_spill_count: 0
    .wavefront_size: 32
  - .args:
      - .address_space:  global
        .offset:         0
        .size:           8
        .value_kind:     global_buffer
      - .address_space:  global
        .offset:         8
        .size:           8
        .value_kind:     global_buffer
      - .offset:         16
        .size:           4
        .value_kind:     by_value
    .group_segment_fixed_size: 512
    .kernarg_segment_align: 8
    .kernarg_segment_size: 20
    .language:       OpenCL C
    .language_version:
      - 2
      - 0
    .max_flat_workgroup_size: 64
    .name:           _Z21shuffle_offset_kernelILj64ElEvPT0_S1_i
    .private_segment_fixed_size: 0
    .sgpr_count:     9
    .sgpr_spill_count: 0
    .symbol:         _Z21shuffle_offset_kernelILj64ElEvPT0_S1_i.kd
    .uniform_work_group_size: 1
    .uses_dynamic_stack: false
    .vgpr_count:     6
    .vgpr_spill_count: 0
    .wavefront_size: 32
  - .args:
      - .address_space:  global
        .offset:         0
        .size:           8
        .value_kind:     global_buffer
      - .address_space:  global
        .offset:         8
        .size:           8
        .value_kind:     global_buffer
      - .offset:         16
        .size:           4
        .value_kind:     by_value
    .group_segment_fixed_size: 1508
    .kernarg_segment_align: 8
    .kernarg_segment_size: 20
    .language:       OpenCL C
    .language_version:
      - 2
      - 0
    .max_flat_workgroup_size: 377
    .name:           _Z21shuffle_offset_kernelILj377EjEvPT0_S1_i
    .private_segment_fixed_size: 0
    .sgpr_count:     9
    .sgpr_spill_count: 0
    .symbol:         _Z21shuffle_offset_kernelILj377EjEvPT0_S1_i.kd
    .uniform_work_group_size: 1
    .uses_dynamic_stack: false
    .vgpr_count:     5
    .vgpr_spill_count: 0
    .wavefront_size: 32
  - .args:
      - .address_space:  global
        .offset:         0
        .size:           8
        .value_kind:     global_buffer
      - .address_space:  global
        .offset:         8
        .size:           8
        .value_kind:     global_buffer
      - .offset:         16
        .size:           4
        .value_kind:     by_value
    .group_segment_fixed_size: 1024
    .kernarg_segment_align: 8
    .kernarg_segment_size: 20
    .language:       OpenCL C
    .language_version:
      - 2
      - 0
    .max_flat_workgroup_size: 256
    .name:           _Z21shuffle_offset_kernelILj256EjEvPT0_S1_i
    .private_segment_fixed_size: 0
    .sgpr_count:     9
    .sgpr_spill_count: 0
    .symbol:         _Z21shuffle_offset_kernelILj256EjEvPT0_S1_i.kd
    .uniform_work_group_size: 1
    .uses_dynamic_stack: false
    .vgpr_count:     5
    .vgpr_spill_count: 0
    .wavefront_size: 32
  - .args:
      - .address_space:  global
        .offset:         0
        .size:           8
        .value_kind:     global_buffer
      - .address_space:  global
        .offset:         8
        .size:           8
        .value_kind:     global_buffer
      - .offset:         16
        .size:           4
        .value_kind:     by_value
    .group_segment_fixed_size: 256
    .kernarg_segment_align: 8
    .kernarg_segment_size: 20
    .language:       OpenCL C
    .language_version:
      - 2
      - 0
    .max_flat_workgroup_size: 64
    .name:           _Z21shuffle_offset_kernelILj64EjEvPT0_S1_i
    .private_segment_fixed_size: 0
    .sgpr_count:     9
    .sgpr_spill_count: 0
    .symbol:         _Z21shuffle_offset_kernelILj64EjEvPT0_S1_i.kd
    .uniform_work_group_size: 1
    .uses_dynamic_stack: false
    .vgpr_count:     5
    .vgpr_spill_count: 0
    .wavefront_size: 32
  - .args:
      - .address_space:  global
        .offset:         0
        .size:           8
        .value_kind:     global_buffer
      - .address_space:  global
        .offset:         8
        .size:           8
        .value_kind:     global_buffer
      - .offset:         16
        .size:           4
        .value_kind:     by_value
    .group_segment_fixed_size: 1020
    .kernarg_segment_align: 8
    .kernarg_segment_size: 20
    .language:       OpenCL C
    .language_version:
      - 2
      - 0
    .max_flat_workgroup_size: 255
    .name:           _Z21shuffle_offset_kernelILj255EiEvPT0_S1_i
    .private_segment_fixed_size: 0
    .sgpr_count:     9
    .sgpr_spill_count: 0
    .symbol:         _Z21shuffle_offset_kernelILj255EiEvPT0_S1_i.kd
    .uniform_work_group_size: 1
    .uses_dynamic_stack: false
    .vgpr_count:     5
    .vgpr_spill_count: 0
    .wavefront_size: 32
  - .args:
      - .address_space:  global
        .offset:         0
        .size:           8
        .value_kind:     global_buffer
      - .address_space:  global
        .offset:         8
        .size:           8
        .value_kind:     global_buffer
      - .offset:         16
        .size:           4
        .value_kind:     by_value
    .group_segment_fixed_size: 648
    .kernarg_segment_align: 8
    .kernarg_segment_size: 20
    .language:       OpenCL C
    .language_version:
      - 2
      - 0
    .max_flat_workgroup_size: 162
    .name:           _Z21shuffle_offset_kernelILj162EiEvPT0_S1_i
    .private_segment_fixed_size: 0
    .sgpr_count:     9
    .sgpr_spill_count: 0
    .symbol:         _Z21shuffle_offset_kernelILj162EiEvPT0_S1_i.kd
    .uniform_work_group_size: 1
    .uses_dynamic_stack: false
    .vgpr_count:     5
    .vgpr_spill_count: 0
    .wavefront_size: 32
  - .args:
      - .address_space:  global
        .offset:         0
        .size:           8
        .value_kind:     global_buffer
      - .address_space:  global
        .offset:         8
        .size:           8
        .value_kind:     global_buffer
      - .offset:         16
        .size:           4
        .value_kind:     by_value
    .group_segment_fixed_size: 148
    .kernarg_segment_align: 8
    .kernarg_segment_size: 20
    .language:       OpenCL C
    .language_version:
      - 2
      - 0
    .max_flat_workgroup_size: 37
    .name:           _Z21shuffle_offset_kernelILj37EiEvPT0_S1_i
    .private_segment_fixed_size: 0
    .sgpr_count:     9
    .sgpr_spill_count: 0
    .symbol:         _Z21shuffle_offset_kernelILj37EiEvPT0_S1_i.kd
    .uniform_work_group_size: 1
    .uses_dynamic_stack: false
    .vgpr_count:     5
    .vgpr_spill_count: 0
    .wavefront_size: 32
  - .args:
      - .address_space:  global
        .offset:         0
        .size:           8
        .value_kind:     global_buffer
      - .address_space:  global
        .offset:         8
        .size:           8
        .value_kind:     global_buffer
      - .offset:         16
        .size:           4
        .value_kind:     by_value
    .group_segment_fixed_size: 260
    .kernarg_segment_align: 8
    .kernarg_segment_size: 20
    .language:       OpenCL C
    .language_version:
      - 2
      - 0
    .max_flat_workgroup_size: 65
    .name:           _Z21shuffle_offset_kernelILj65EiEvPT0_S1_i
    .private_segment_fixed_size: 0
    .sgpr_count:     9
    .sgpr_spill_count: 0
    .symbol:         _Z21shuffle_offset_kernelILj65EiEvPT0_S1_i.kd
    .uniform_work_group_size: 1
    .uses_dynamic_stack: false
    .vgpr_count:     5
    .vgpr_spill_count: 0
    .wavefront_size: 32
  - .args:
      - .address_space:  global
        .offset:         0
        .size:           8
        .value_kind:     global_buffer
      - .address_space:  global
        .offset:         8
        .size:           8
        .value_kind:     global_buffer
      - .offset:         16
        .size:           4
        .value_kind:     by_value
    .group_segment_fixed_size: 2048
    .kernarg_segment_align: 8
    .kernarg_segment_size: 20
    .language:       OpenCL C
    .language_version:
      - 2
      - 0
    .max_flat_workgroup_size: 512
    .name:           _Z21shuffle_offset_kernelILj512EiEvPT0_S1_i
    .private_segment_fixed_size: 0
    .sgpr_count:     9
    .sgpr_spill_count: 0
    .symbol:         _Z21shuffle_offset_kernelILj512EiEvPT0_S1_i.kd
    .uniform_work_group_size: 1
    .uses_dynamic_stack: false
    .vgpr_count:     5
    .vgpr_spill_count: 0
    .wavefront_size: 32
  - .args:
      - .address_space:  global
        .offset:         0
        .size:           8
        .value_kind:     global_buffer
      - .address_space:  global
        .offset:         8
        .size:           8
        .value_kind:     global_buffer
      - .offset:         16
        .size:           4
        .value_kind:     by_value
    .group_segment_fixed_size: 1024
    .kernarg_segment_align: 8
    .kernarg_segment_size: 20
    .language:       OpenCL C
    .language_version:
      - 2
      - 0
    .max_flat_workgroup_size: 256
    .name:           _Z21shuffle_offset_kernelILj256EiEvPT0_S1_i
    .private_segment_fixed_size: 0
    .sgpr_count:     9
    .sgpr_spill_count: 0
    .symbol:         _Z21shuffle_offset_kernelILj256EiEvPT0_S1_i.kd
    .uniform_work_group_size: 1
    .uses_dynamic_stack: false
    .vgpr_count:     5
    .vgpr_spill_count: 0
    .wavefront_size: 32
  - .args:
      - .address_space:  global
        .offset:         0
        .size:           8
        .value_kind:     global_buffer
      - .address_space:  global
        .offset:         8
        .size:           8
        .value_kind:     global_buffer
      - .offset:         16
        .size:           4
        .value_kind:     by_value
    .group_segment_fixed_size: 512
    .kernarg_segment_align: 8
    .kernarg_segment_size: 20
    .language:       OpenCL C
    .language_version:
      - 2
      - 0
    .max_flat_workgroup_size: 128
    .name:           _Z21shuffle_offset_kernelILj128EiEvPT0_S1_i
    .private_segment_fixed_size: 0
    .sgpr_count:     9
    .sgpr_spill_count: 0
    .symbol:         _Z21shuffle_offset_kernelILj128EiEvPT0_S1_i.kd
    .uniform_work_group_size: 1
    .uses_dynamic_stack: false
    .vgpr_count:     5
    .vgpr_spill_count: 0
    .wavefront_size: 32
  - .args:
      - .address_space:  global
        .offset:         0
        .size:           8
        .value_kind:     global_buffer
      - .address_space:  global
        .offset:         8
        .size:           8
        .value_kind:     global_buffer
      - .offset:         16
        .size:           4
        .value_kind:     by_value
    .group_segment_fixed_size: 256
    .kernarg_segment_align: 8
    .kernarg_segment_size: 20
    .language:       OpenCL C
    .language_version:
      - 2
      - 0
    .max_flat_workgroup_size: 64
    .name:           _Z21shuffle_offset_kernelILj64EiEvPT0_S1_i
    .private_segment_fixed_size: 0
    .sgpr_count:     9
    .sgpr_spill_count: 0
    .symbol:         _Z21shuffle_offset_kernelILj64EiEvPT0_S1_i.kd
    .uniform_work_group_size: 1
    .uses_dynamic_stack: false
    .vgpr_count:     5
    .vgpr_spill_count: 0
    .wavefront_size: 32
  - .args:
      - .address_space:  global
        .offset:         0
        .size:           8
        .value_kind:     global_buffer
      - .address_space:  global
        .offset:         8
        .size:           8
        .value_kind:     global_buffer
      - .offset:         16
        .size:           4
        .value_kind:     by_value
    .group_segment_fixed_size: 64
    .kernarg_segment_align: 8
    .kernarg_segment_size: 20
    .language:       OpenCL C
    .language_version:
      - 2
      - 0
    .max_flat_workgroup_size: 32
    .name:           _Z21shuffle_rotate_kernelILj32E12hip_bfloat16EvPT0_S2_i
    .private_segment_fixed_size: 0
    .sgpr_count:     11
    .sgpr_spill_count: 0
    .symbol:         _Z21shuffle_rotate_kernelILj32E12hip_bfloat16EvPT0_S2_i.kd
    .uniform_work_group_size: 1
    .uses_dynamic_stack: false
    .vgpr_count:     5
    .vgpr_spill_count: 0
    .wavefront_size: 32
  - .args:
      - .address_space:  global
        .offset:         0
        .size:           8
        .value_kind:     global_buffer
      - .address_space:  global
        .offset:         8
        .size:           8
        .value_kind:     global_buffer
      - .offset:         16
        .size:           4
        .value_kind:     by_value
    .group_segment_fixed_size: 64
    .kernarg_segment_align: 8
    .kernarg_segment_size: 20
    .language:       OpenCL C
    .language_version:
      - 2
      - 0
    .max_flat_workgroup_size: 32
    .name:           _Z21shuffle_rotate_kernelILj32E6__halfEvPT0_S2_i
    .private_segment_fixed_size: 0
    .sgpr_count:     11
    .sgpr_spill_count: 0
    .symbol:         _Z21shuffle_rotate_kernelILj32E6__halfEvPT0_S2_i.kd
    .uniform_work_group_size: 1
    .uses_dynamic_stack: false
    .vgpr_count:     5
    .vgpr_spill_count: 0
    .wavefront_size: 32
  - .args:
      - .address_space:  global
        .offset:         0
        .size:           8
        .value_kind:     global_buffer
      - .address_space:  global
        .offset:         8
        .size:           8
        .value_kind:     global_buffer
      - .offset:         16
        .size:           4
        .value_kind:     by_value
    .group_segment_fixed_size: 128
    .kernarg_segment_align: 8
    .kernarg_segment_size: 20
    .language:       OpenCL C
    .language_version:
      - 2
      - 0
    .max_flat_workgroup_size: 32
    .name:           _Z21shuffle_rotate_kernelILj32EfEvPT0_S1_i
    .private_segment_fixed_size: 0
    .sgpr_count:     11
    .sgpr_spill_count: 0
    .symbol:         _Z21shuffle_rotate_kernelILj32EfEvPT0_S1_i.kd
    .uniform_work_group_size: 1
    .uses_dynamic_stack: false
    .vgpr_count:     5
    .vgpr_spill_count: 0
    .wavefront_size: 32
  - .args:
      - .address_space:  global
        .offset:         0
        .size:           8
        .value_kind:     global_buffer
      - .address_space:  global
        .offset:         8
        .size:           8
        .value_kind:     global_buffer
      - .offset:         16
        .size:           4
        .value_kind:     by_value
    .group_segment_fixed_size: 3016
    .kernarg_segment_align: 8
    .kernarg_segment_size: 20
    .language:       OpenCL C
    .language_version:
      - 2
      - 0
    .max_flat_workgroup_size: 377
    .name:           _Z21shuffle_rotate_kernelILj377ElEvPT0_S1_i
    .private_segment_fixed_size: 0
    .sgpr_count:     11
    .sgpr_spill_count: 0
    .symbol:         _Z21shuffle_rotate_kernelILj377ElEvPT0_S1_i.kd
    .uniform_work_group_size: 1
    .uses_dynamic_stack: false
    .vgpr_count:     7
    .vgpr_spill_count: 0
    .wavefront_size: 32
  - .args:
      - .address_space:  global
        .offset:         0
        .size:           8
        .value_kind:     global_buffer
      - .address_space:  global
        .offset:         8
        .size:           8
        .value_kind:     global_buffer
      - .offset:         16
        .size:           4
        .value_kind:     by_value
    .group_segment_fixed_size: 2048
    .kernarg_segment_align: 8
    .kernarg_segment_size: 20
    .language:       OpenCL C
    .language_version:
      - 2
      - 0
    .max_flat_workgroup_size: 256
    .name:           _Z21shuffle_rotate_kernelILj256ElEvPT0_S1_i
    .private_segment_fixed_size: 0
    .sgpr_count:     11
    .sgpr_spill_count: 0
    .symbol:         _Z21shuffle_rotate_kernelILj256ElEvPT0_S1_i.kd
    .uniform_work_group_size: 1
    .uses_dynamic_stack: false
    .vgpr_count:     6
    .vgpr_spill_count: 0
    .wavefront_size: 32
  - .args:
      - .address_space:  global
        .offset:         0
        .size:           8
        .value_kind:     global_buffer
      - .address_space:  global
        .offset:         8
        .size:           8
        .value_kind:     global_buffer
      - .offset:         16
        .size:           4
        .value_kind:     by_value
    .group_segment_fixed_size: 512
    .kernarg_segment_align: 8
    .kernarg_segment_size: 20
    .language:       OpenCL C
    .language_version:
      - 2
      - 0
    .max_flat_workgroup_size: 64
    .name:           _Z21shuffle_rotate_kernelILj64ElEvPT0_S1_i
    .private_segment_fixed_size: 0
    .sgpr_count:     11
    .sgpr_spill_count: 0
    .symbol:         _Z21shuffle_rotate_kernelILj64ElEvPT0_S1_i.kd
    .uniform_work_group_size: 1
    .uses_dynamic_stack: false
    .vgpr_count:     6
    .vgpr_spill_count: 0
    .wavefront_size: 32
  - .args:
      - .address_space:  global
        .offset:         0
        .size:           8
        .value_kind:     global_buffer
      - .address_space:  global
        .offset:         8
        .size:           8
        .value_kind:     global_buffer
      - .offset:         16
        .size:           4
        .value_kind:     by_value
    .group_segment_fixed_size: 1508
    .kernarg_segment_align: 8
    .kernarg_segment_size: 20
    .language:       OpenCL C
    .language_version:
      - 2
      - 0
    .max_flat_workgroup_size: 377
    .name:           _Z21shuffle_rotate_kernelILj377EjEvPT0_S1_i
    .private_segment_fixed_size: 0
    .sgpr_count:     11
    .sgpr_spill_count: 0
    .symbol:         _Z21shuffle_rotate_kernelILj377EjEvPT0_S1_i.kd
    .uniform_work_group_size: 1
    .uses_dynamic_stack: false
    .vgpr_count:     6
    .vgpr_spill_count: 0
    .wavefront_size: 32
  - .args:
      - .address_space:  global
        .offset:         0
        .size:           8
        .value_kind:     global_buffer
      - .address_space:  global
        .offset:         8
        .size:           8
        .value_kind:     global_buffer
      - .offset:         16
        .size:           4
        .value_kind:     by_value
    .group_segment_fixed_size: 1024
    .kernarg_segment_align: 8
    .kernarg_segment_size: 20
    .language:       OpenCL C
    .language_version:
      - 2
      - 0
    .max_flat_workgroup_size: 256
    .name:           _Z21shuffle_rotate_kernelILj256EjEvPT0_S1_i
    .private_segment_fixed_size: 0
    .sgpr_count:     11
    .sgpr_spill_count: 0
    .symbol:         _Z21shuffle_rotate_kernelILj256EjEvPT0_S1_i.kd
    .uniform_work_group_size: 1
    .uses_dynamic_stack: false
    .vgpr_count:     5
    .vgpr_spill_count: 0
    .wavefront_size: 32
  - .args:
      - .address_space:  global
        .offset:         0
        .size:           8
        .value_kind:     global_buffer
      - .address_space:  global
        .offset:         8
        .size:           8
        .value_kind:     global_buffer
      - .offset:         16
        .size:           4
        .value_kind:     by_value
    .group_segment_fixed_size: 256
    .kernarg_segment_align: 8
    .kernarg_segment_size: 20
    .language:       OpenCL C
    .language_version:
      - 2
      - 0
    .max_flat_workgroup_size: 64
    .name:           _Z21shuffle_rotate_kernelILj64EjEvPT0_S1_i
    .private_segment_fixed_size: 0
    .sgpr_count:     11
    .sgpr_spill_count: 0
    .symbol:         _Z21shuffle_rotate_kernelILj64EjEvPT0_S1_i.kd
    .uniform_work_group_size: 1
    .uses_dynamic_stack: false
    .vgpr_count:     5
    .vgpr_spill_count: 0
    .wavefront_size: 32
  - .args:
      - .address_space:  global
        .offset:         0
        .size:           8
        .value_kind:     global_buffer
      - .address_space:  global
        .offset:         8
        .size:           8
        .value_kind:     global_buffer
      - .offset:         16
        .size:           4
        .value_kind:     by_value
    .group_segment_fixed_size: 1020
    .kernarg_segment_align: 8
    .kernarg_segment_size: 20
    .language:       OpenCL C
    .language_version:
      - 2
      - 0
    .max_flat_workgroup_size: 255
    .name:           _Z21shuffle_rotate_kernelILj255EiEvPT0_S1_i
    .private_segment_fixed_size: 0
    .sgpr_count:     11
    .sgpr_spill_count: 0
    .symbol:         _Z21shuffle_rotate_kernelILj255EiEvPT0_S1_i.kd
    .uniform_work_group_size: 1
    .uses_dynamic_stack: false
    .vgpr_count:     6
    .vgpr_spill_count: 0
    .wavefront_size: 32
  - .args:
      - .address_space:  global
        .offset:         0
        .size:           8
        .value_kind:     global_buffer
      - .address_space:  global
        .offset:         8
        .size:           8
        .value_kind:     global_buffer
      - .offset:         16
        .size:           4
        .value_kind:     by_value
    .group_segment_fixed_size: 648
    .kernarg_segment_align: 8
    .kernarg_segment_size: 20
    .language:       OpenCL C
    .language_version:
      - 2
      - 0
    .max_flat_workgroup_size: 162
    .name:           _Z21shuffle_rotate_kernelILj162EiEvPT0_S1_i
    .private_segment_fixed_size: 0
    .sgpr_count:     11
    .sgpr_spill_count: 0
    .symbol:         _Z21shuffle_rotate_kernelILj162EiEvPT0_S1_i.kd
    .uniform_work_group_size: 1
    .uses_dynamic_stack: false
    .vgpr_count:     6
    .vgpr_spill_count: 0
    .wavefront_size: 32
  - .args:
      - .address_space:  global
        .offset:         0
        .size:           8
        .value_kind:     global_buffer
      - .address_space:  global
        .offset:         8
        .size:           8
        .value_kind:     global_buffer
      - .offset:         16
        .size:           4
        .value_kind:     by_value
    .group_segment_fixed_size: 148
    .kernarg_segment_align: 8
    .kernarg_segment_size: 20
    .language:       OpenCL C
    .language_version:
      - 2
      - 0
    .max_flat_workgroup_size: 37
    .name:           _Z21shuffle_rotate_kernelILj37EiEvPT0_S1_i
    .private_segment_fixed_size: 0
    .sgpr_count:     11
    .sgpr_spill_count: 0
    .symbol:         _Z21shuffle_rotate_kernelILj37EiEvPT0_S1_i.kd
    .uniform_work_group_size: 1
    .uses_dynamic_stack: false
    .vgpr_count:     6
    .vgpr_spill_count: 0
    .wavefront_size: 32
  - .args:
      - .address_space:  global
        .offset:         0
        .size:           8
        .value_kind:     global_buffer
      - .address_space:  global
        .offset:         8
        .size:           8
        .value_kind:     global_buffer
      - .offset:         16
        .size:           4
        .value_kind:     by_value
    .group_segment_fixed_size: 260
    .kernarg_segment_align: 8
    .kernarg_segment_size: 20
    .language:       OpenCL C
    .language_version:
      - 2
      - 0
    .max_flat_workgroup_size: 65
    .name:           _Z21shuffle_rotate_kernelILj65EiEvPT0_S1_i
    .private_segment_fixed_size: 0
    .sgpr_count:     11
    .sgpr_spill_count: 0
    .symbol:         _Z21shuffle_rotate_kernelILj65EiEvPT0_S1_i.kd
    .uniform_work_group_size: 1
    .uses_dynamic_stack: false
    .vgpr_count:     6
    .vgpr_spill_count: 0
    .wavefront_size: 32
  - .args:
      - .address_space:  global
        .offset:         0
        .size:           8
        .value_kind:     global_buffer
      - .address_space:  global
        .offset:         8
        .size:           8
        .value_kind:     global_buffer
      - .offset:         16
        .size:           4
        .value_kind:     by_value
    .group_segment_fixed_size: 2048
    .kernarg_segment_align: 8
    .kernarg_segment_size: 20
    .language:       OpenCL C
    .language_version:
      - 2
      - 0
    .max_flat_workgroup_size: 512
    .name:           _Z21shuffle_rotate_kernelILj512EiEvPT0_S1_i
    .private_segment_fixed_size: 0
    .sgpr_count:     11
    .sgpr_spill_count: 0
    .symbol:         _Z21shuffle_rotate_kernelILj512EiEvPT0_S1_i.kd
    .uniform_work_group_size: 1
    .uses_dynamic_stack: false
    .vgpr_count:     5
    .vgpr_spill_count: 0
    .wavefront_size: 32
  - .args:
      - .address_space:  global
        .offset:         0
        .size:           8
        .value_kind:     global_buffer
      - .address_space:  global
        .offset:         8
        .size:           8
        .value_kind:     global_buffer
      - .offset:         16
        .size:           4
        .value_kind:     by_value
    .group_segment_fixed_size: 1024
    .kernarg_segment_align: 8
    .kernarg_segment_size: 20
    .language:       OpenCL C
    .language_version:
      - 2
      - 0
    .max_flat_workgroup_size: 256
    .name:           _Z21shuffle_rotate_kernelILj256EiEvPT0_S1_i
    .private_segment_fixed_size: 0
    .sgpr_count:     11
    .sgpr_spill_count: 0
    .symbol:         _Z21shuffle_rotate_kernelILj256EiEvPT0_S1_i.kd
    .uniform_work_group_size: 1
    .uses_dynamic_stack: false
    .vgpr_count:     5
    .vgpr_spill_count: 0
    .wavefront_size: 32
  - .args:
      - .address_space:  global
        .offset:         0
        .size:           8
        .value_kind:     global_buffer
      - .address_space:  global
        .offset:         8
        .size:           8
        .value_kind:     global_buffer
      - .offset:         16
        .size:           4
        .value_kind:     by_value
    .group_segment_fixed_size: 512
    .kernarg_segment_align: 8
    .kernarg_segment_size: 20
    .language:       OpenCL C
    .language_version:
      - 2
      - 0
    .max_flat_workgroup_size: 128
    .name:           _Z21shuffle_rotate_kernelILj128EiEvPT0_S1_i
    .private_segment_fixed_size: 0
    .sgpr_count:     11
    .sgpr_spill_count: 0
    .symbol:         _Z21shuffle_rotate_kernelILj128EiEvPT0_S1_i.kd
    .uniform_work_group_size: 1
    .uses_dynamic_stack: false
    .vgpr_count:     5
    .vgpr_spill_count: 0
    .wavefront_size: 32
  - .args:
      - .address_space:  global
        .offset:         0
        .size:           8
        .value_kind:     global_buffer
      - .address_space:  global
        .offset:         8
        .size:           8
        .value_kind:     global_buffer
      - .offset:         16
        .size:           4
        .value_kind:     by_value
    .group_segment_fixed_size: 256
    .kernarg_segment_align: 8
    .kernarg_segment_size: 20
    .language:       OpenCL C
    .language_version:
      - 2
      - 0
    .max_flat_workgroup_size: 64
    .name:           _Z21shuffle_rotate_kernelILj64EiEvPT0_S1_i
    .private_segment_fixed_size: 0
    .sgpr_count:     11
    .sgpr_spill_count: 0
    .symbol:         _Z21shuffle_rotate_kernelILj64EiEvPT0_S1_i.kd
    .uniform_work_group_size: 1
    .uses_dynamic_stack: false
    .vgpr_count:     5
    .vgpr_spill_count: 0
    .wavefront_size: 32
  - .args:
      - .address_space:  global
        .offset:         0
        .size:           8
        .value_kind:     global_buffer
      - .address_space:  global
        .offset:         8
        .size:           8
        .value_kind:     global_buffer
    .group_segment_fixed_size: 64
    .kernarg_segment_align: 8
    .kernarg_segment_size: 16
    .language:       OpenCL C
    .language_version:
      - 2
      - 0
    .max_flat_workgroup_size: 32
    .name:           _Z17shuffle_up_kernelILj32ELj128E12hip_bfloat16EvPT1_S2_
    .private_segment_fixed_size: 0
    .sgpr_count:     7
    .sgpr_spill_count: 0
    .symbol:         _Z17shuffle_up_kernelILj32ELj128E12hip_bfloat16EvPT1_S2_.kd
    .uniform_work_group_size: 1
    .uses_dynamic_stack: false
    .vgpr_count:     8
    .vgpr_spill_count: 0
    .wavefront_size: 32
  - .args:
      - .address_space:  global
        .offset:         0
        .size:           8
        .value_kind:     global_buffer
      - .address_space:  global
        .offset:         8
        .size:           8
        .value_kind:     global_buffer
    .group_segment_fixed_size: 64
    .kernarg_segment_align: 8
    .kernarg_segment_size: 16
    .language:       OpenCL C
    .language_version:
      - 2
      - 0
    .max_flat_workgroup_size: 32
    .name:           _Z17shuffle_up_kernelILj32ELj128E6__halfEvPT1_S2_
    .private_segment_fixed_size: 0
    .sgpr_count:     7
    .sgpr_spill_count: 0
    .symbol:         _Z17shuffle_up_kernelILj32ELj128E6__halfEvPT1_S2_.kd
    .uniform_work_group_size: 1
    .uses_dynamic_stack: false
    .vgpr_count:     8
    .vgpr_spill_count: 0
    .wavefront_size: 32
  - .args:
      - .address_space:  global
        .offset:         0
        .size:           8
        .value_kind:     global_buffer
      - .address_space:  global
        .offset:         8
        .size:           8
        .value_kind:     global_buffer
    .group_segment_fixed_size: 128
    .kernarg_segment_align: 8
    .kernarg_segment_size: 16
    .language:       OpenCL C
    .language_version:
      - 2
      - 0
    .max_flat_workgroup_size: 32
    .name:           _Z17shuffle_up_kernelILj32ELj128EfEvPT1_S1_
    .private_segment_fixed_size: 0
    .sgpr_count:     7
    .sgpr_spill_count: 0
    .symbol:         _Z17shuffle_up_kernelILj32ELj128EfEvPT1_S1_.kd
    .uniform_work_group_size: 1
    .uses_dynamic_stack: false
    .vgpr_count:     8
    .vgpr_spill_count: 0
    .wavefront_size: 32
  - .args:
      - .address_space:  global
        .offset:         0
        .size:           8
        .value_kind:     global_buffer
      - .address_space:  global
        .offset:         8
        .size:           8
        .value_kind:     global_buffer
    .group_segment_fixed_size: 3016
    .kernarg_segment_align: 8
    .kernarg_segment_size: 16
    .language:       OpenCL C
    .language_version:
      - 2
      - 0
    .max_flat_workgroup_size: 377
    .name:           _Z17shuffle_up_kernelILj377ELj128ElEvPT1_S1_
    .private_segment_fixed_size: 0
    .sgpr_count:     7
    .sgpr_spill_count: 0
    .symbol:         _Z17shuffle_up_kernelILj377ELj128ElEvPT1_S1_.kd
    .uniform_work_group_size: 1
    .uses_dynamic_stack: false
    .vgpr_count:     10
    .vgpr_spill_count: 0
    .wavefront_size: 32
  - .args:
      - .address_space:  global
        .offset:         0
        .size:           8
        .value_kind:     global_buffer
      - .address_space:  global
        .offset:         8
        .size:           8
        .value_kind:     global_buffer
    .group_segment_fixed_size: 2048
    .kernarg_segment_align: 8
    .kernarg_segment_size: 16
    .language:       OpenCL C
    .language_version:
      - 2
      - 0
    .max_flat_workgroup_size: 256
    .name:           _Z17shuffle_up_kernelILj256ELj128ElEvPT1_S1_
    .private_segment_fixed_size: 0
    .sgpr_count:     7
    .sgpr_spill_count: 0
    .symbol:         _Z17shuffle_up_kernelILj256ELj128ElEvPT1_S1_.kd
    .uniform_work_group_size: 1
    .uses_dynamic_stack: false
    .vgpr_count:     10
    .vgpr_spill_count: 0
    .wavefront_size: 32
  - .args:
      - .address_space:  global
        .offset:         0
        .size:           8
        .value_kind:     global_buffer
      - .address_space:  global
        .offset:         8
        .size:           8
        .value_kind:     global_buffer
    .group_segment_fixed_size: 512
    .kernarg_segment_align: 8
    .kernarg_segment_size: 16
    .language:       OpenCL C
    .language_version:
      - 2
      - 0
    .max_flat_workgroup_size: 64
    .name:           _Z17shuffle_up_kernelILj64ELj128ElEvPT1_S1_
    .private_segment_fixed_size: 0
    .sgpr_count:     7
    .sgpr_spill_count: 0
    .symbol:         _Z17shuffle_up_kernelILj64ELj128ElEvPT1_S1_.kd
    .uniform_work_group_size: 1
    .uses_dynamic_stack: false
    .vgpr_count:     10
    .vgpr_spill_count: 0
    .wavefront_size: 32
  - .args:
      - .address_space:  global
        .offset:         0
        .size:           8
        .value_kind:     global_buffer
      - .address_space:  global
        .offset:         8
        .size:           8
        .value_kind:     global_buffer
    .group_segment_fixed_size: 1508
    .kernarg_segment_align: 8
    .kernarg_segment_size: 16
    .language:       OpenCL C
    .language_version:
      - 2
      - 0
    .max_flat_workgroup_size: 377
    .name:           _Z17shuffle_up_kernelILj377ELj128EjEvPT1_S1_
    .private_segment_fixed_size: 0
    .sgpr_count:     7
    .sgpr_spill_count: 0
    .symbol:         _Z17shuffle_up_kernelILj377ELj128EjEvPT1_S1_.kd
    .uniform_work_group_size: 1
    .uses_dynamic_stack: false
    .vgpr_count:     8
    .vgpr_spill_count: 0
    .wavefront_size: 32
  - .args:
      - .address_space:  global
        .offset:         0
        .size:           8
        .value_kind:     global_buffer
      - .address_space:  global
        .offset:         8
        .size:           8
        .value_kind:     global_buffer
    .group_segment_fixed_size: 1024
    .kernarg_segment_align: 8
    .kernarg_segment_size: 16
    .language:       OpenCL C
    .language_version:
      - 2
      - 0
    .max_flat_workgroup_size: 256
    .name:           _Z17shuffle_up_kernelILj256ELj128EjEvPT1_S1_
    .private_segment_fixed_size: 0
    .sgpr_count:     7
    .sgpr_spill_count: 0
    .symbol:         _Z17shuffle_up_kernelILj256ELj128EjEvPT1_S1_.kd
    .uniform_work_group_size: 1
    .uses_dynamic_stack: false
    .vgpr_count:     8
    .vgpr_spill_count: 0
    .wavefront_size: 32
  - .args:
      - .address_space:  global
        .offset:         0
        .size:           8
        .value_kind:     global_buffer
      - .address_space:  global
        .offset:         8
        .size:           8
        .value_kind:     global_buffer
    .group_segment_fixed_size: 256
    .kernarg_segment_align: 8
    .kernarg_segment_size: 16
    .language:       OpenCL C
    .language_version:
      - 2
      - 0
    .max_flat_workgroup_size: 64
    .name:           _Z17shuffle_up_kernelILj64ELj128EjEvPT1_S1_
    .private_segment_fixed_size: 0
    .sgpr_count:     7
    .sgpr_spill_count: 0
    .symbol:         _Z17shuffle_up_kernelILj64ELj128EjEvPT1_S1_.kd
    .uniform_work_group_size: 1
    .uses_dynamic_stack: false
    .vgpr_count:     8
    .vgpr_spill_count: 0
    .wavefront_size: 32
  - .args:
      - .address_space:  global
        .offset:         0
        .size:           8
        .value_kind:     global_buffer
      - .address_space:  global
        .offset:         8
        .size:           8
        .value_kind:     global_buffer
    .group_segment_fixed_size: 1020
    .kernarg_segment_align: 8
    .kernarg_segment_size: 16
    .language:       OpenCL C
    .language_version:
      - 2
      - 0
    .max_flat_workgroup_size: 255
    .name:           _Z17shuffle_up_kernelILj255ELj128EiEvPT1_S1_
    .private_segment_fixed_size: 0
    .sgpr_count:     7
    .sgpr_spill_count: 0
    .symbol:         _Z17shuffle_up_kernelILj255ELj128EiEvPT1_S1_.kd
    .uniform_work_group_size: 1
    .uses_dynamic_stack: false
    .vgpr_count:     8
    .vgpr_spill_count: 0
    .wavefront_size: 32
  - .args:
      - .address_space:  global
        .offset:         0
        .size:           8
        .value_kind:     global_buffer
      - .address_space:  global
        .offset:         8
        .size:           8
        .value_kind:     global_buffer
    .group_segment_fixed_size: 648
    .kernarg_segment_align: 8
    .kernarg_segment_size: 16
    .language:       OpenCL C
    .language_version:
      - 2
      - 0
    .max_flat_workgroup_size: 162
    .name:           _Z17shuffle_up_kernelILj162ELj128EiEvPT1_S1_
    .private_segment_fixed_size: 0
    .sgpr_count:     7
    .sgpr_spill_count: 0
    .symbol:         _Z17shuffle_up_kernelILj162ELj128EiEvPT1_S1_.kd
    .uniform_work_group_size: 1
    .uses_dynamic_stack: false
    .vgpr_count:     8
    .vgpr_spill_count: 0
    .wavefront_size: 32
  - .args:
      - .address_space:  global
        .offset:         0
        .size:           8
        .value_kind:     global_buffer
      - .address_space:  global
        .offset:         8
        .size:           8
        .value_kind:     global_buffer
    .group_segment_fixed_size: 148
    .kernarg_segment_align: 8
    .kernarg_segment_size: 16
    .language:       OpenCL C
    .language_version:
      - 2
      - 0
    .max_flat_workgroup_size: 37
    .name:           _Z17shuffle_up_kernelILj37ELj128EiEvPT1_S1_
    .private_segment_fixed_size: 0
    .sgpr_count:     7
    .sgpr_spill_count: 0
    .symbol:         _Z17shuffle_up_kernelILj37ELj128EiEvPT1_S1_.kd
    .uniform_work_group_size: 1
    .uses_dynamic_stack: false
    .vgpr_count:     8
    .vgpr_spill_count: 0
    .wavefront_size: 32
  - .args:
      - .address_space:  global
        .offset:         0
        .size:           8
        .value_kind:     global_buffer
      - .address_space:  global
        .offset:         8
        .size:           8
        .value_kind:     global_buffer
    .group_segment_fixed_size: 260
    .kernarg_segment_align: 8
    .kernarg_segment_size: 16
    .language:       OpenCL C
    .language_version:
      - 2
      - 0
    .max_flat_workgroup_size: 65
    .name:           _Z17shuffle_up_kernelILj65ELj128EiEvPT1_S1_
    .private_segment_fixed_size: 0
    .sgpr_count:     7
    .sgpr_spill_count: 0
    .symbol:         _Z17shuffle_up_kernelILj65ELj128EiEvPT1_S1_.kd
    .uniform_work_group_size: 1
    .uses_dynamic_stack: false
    .vgpr_count:     8
    .vgpr_spill_count: 0
    .wavefront_size: 32
  - .args:
      - .address_space:  global
        .offset:         0
        .size:           8
        .value_kind:     global_buffer
      - .address_space:  global
        .offset:         8
        .size:           8
        .value_kind:     global_buffer
    .group_segment_fixed_size: 2048
    .kernarg_segment_align: 8
    .kernarg_segment_size: 16
    .language:       OpenCL C
    .language_version:
      - 2
      - 0
    .max_flat_workgroup_size: 512
    .name:           _Z17shuffle_up_kernelILj512ELj128EiEvPT1_S1_
    .private_segment_fixed_size: 0
    .sgpr_count:     7
    .sgpr_spill_count: 0
    .symbol:         _Z17shuffle_up_kernelILj512ELj128EiEvPT1_S1_.kd
    .uniform_work_group_size: 1
    .uses_dynamic_stack: false
    .vgpr_count:     8
    .vgpr_spill_count: 0
    .wavefront_size: 32
  - .args:
      - .address_space:  global
        .offset:         0
        .size:           8
        .value_kind:     global_buffer
      - .address_space:  global
        .offset:         8
        .size:           8
        .value_kind:     global_buffer
    .group_segment_fixed_size: 1024
    .kernarg_segment_align: 8
    .kernarg_segment_size: 16
    .language:       OpenCL C
    .language_version:
      - 2
      - 0
    .max_flat_workgroup_size: 256
    .name:           _Z17shuffle_up_kernelILj256ELj128EiEvPT1_S1_
    .private_segment_fixed_size: 0
    .sgpr_count:     7
    .sgpr_spill_count: 0
    .symbol:         _Z17shuffle_up_kernelILj256ELj128EiEvPT1_S1_.kd
    .uniform_work_group_size: 1
    .uses_dynamic_stack: false
    .vgpr_count:     8
    .vgpr_spill_count: 0
    .wavefront_size: 32
  - .args:
      - .address_space:  global
        .offset:         0
        .size:           8
        .value_kind:     global_buffer
      - .address_space:  global
        .offset:         8
        .size:           8
        .value_kind:     global_buffer
    .group_segment_fixed_size: 512
    .kernarg_segment_align: 8
    .kernarg_segment_size: 16
    .language:       OpenCL C
    .language_version:
      - 2
      - 0
    .max_flat_workgroup_size: 128
    .name:           _Z17shuffle_up_kernelILj128ELj128EiEvPT1_S1_
    .private_segment_fixed_size: 0
    .sgpr_count:     7
    .sgpr_spill_count: 0
    .symbol:         _Z17shuffle_up_kernelILj128ELj128EiEvPT1_S1_.kd
    .uniform_work_group_size: 1
    .uses_dynamic_stack: false
    .vgpr_count:     8
    .vgpr_spill_count: 0
    .wavefront_size: 32
  - .args:
      - .address_space:  global
        .offset:         0
        .size:           8
        .value_kind:     global_buffer
      - .address_space:  global
        .offset:         8
        .size:           8
        .value_kind:     global_buffer
    .group_segment_fixed_size: 256
    .kernarg_segment_align: 8
    .kernarg_segment_size: 16
    .language:       OpenCL C
    .language_version:
      - 2
      - 0
    .max_flat_workgroup_size: 64
    .name:           _Z17shuffle_up_kernelILj64ELj128EiEvPT1_S1_
    .private_segment_fixed_size: 0
    .sgpr_count:     7
    .sgpr_spill_count: 0
    .symbol:         _Z17shuffle_up_kernelILj64ELj128EiEvPT1_S1_.kd
    .uniform_work_group_size: 1
    .uses_dynamic_stack: false
    .vgpr_count:     8
    .vgpr_spill_count: 0
    .wavefront_size: 32
  - .args:
      - .address_space:  global
        .offset:         0
        .size:           8
        .value_kind:     global_buffer
      - .address_space:  global
        .offset:         8
        .size:           8
        .value_kind:     global_buffer
    .group_segment_fixed_size: 64
    .kernarg_segment_align: 8
    .kernarg_segment_size: 16
    .language:       OpenCL C
    .language_version:
      - 2
      - 0
    .max_flat_workgroup_size: 32
    .name:           _Z19shuffle_down_kernelILj32ELj128E12hip_bfloat16EvPT1_S2_
    .private_segment_fixed_size: 0
    .sgpr_count:     7
    .sgpr_spill_count: 0
    .symbol:         _Z19shuffle_down_kernelILj32ELj128E12hip_bfloat16EvPT1_S2_.kd
    .uniform_work_group_size: 1
    .uses_dynamic_stack: false
    .vgpr_count:     8
    .vgpr_spill_count: 0
    .wavefront_size: 32
  - .args:
      - .address_space:  global
        .offset:         0
        .size:           8
        .value_kind:     global_buffer
      - .address_space:  global
        .offset:         8
        .size:           8
        .value_kind:     global_buffer
    .group_segment_fixed_size: 64
    .kernarg_segment_align: 8
    .kernarg_segment_size: 16
    .language:       OpenCL C
    .language_version:
      - 2
      - 0
    .max_flat_workgroup_size: 32
    .name:           _Z19shuffle_down_kernelILj32ELj128E6__halfEvPT1_S2_
    .private_segment_fixed_size: 0
    .sgpr_count:     7
    .sgpr_spill_count: 0
    .symbol:         _Z19shuffle_down_kernelILj32ELj128E6__halfEvPT1_S2_.kd
    .uniform_work_group_size: 1
    .uses_dynamic_stack: false
    .vgpr_count:     8
    .vgpr_spill_count: 0
    .wavefront_size: 32
  - .args:
      - .address_space:  global
        .offset:         0
        .size:           8
        .value_kind:     global_buffer
      - .address_space:  global
        .offset:         8
        .size:           8
        .value_kind:     global_buffer
    .group_segment_fixed_size: 128
    .kernarg_segment_align: 8
    .kernarg_segment_size: 16
    .language:       OpenCL C
    .language_version:
      - 2
      - 0
    .max_flat_workgroup_size: 32
    .name:           _Z19shuffle_down_kernelILj32ELj128EfEvPT1_S1_
    .private_segment_fixed_size: 0
    .sgpr_count:     7
    .sgpr_spill_count: 0
    .symbol:         _Z19shuffle_down_kernelILj32ELj128EfEvPT1_S1_.kd
    .uniform_work_group_size: 1
    .uses_dynamic_stack: false
    .vgpr_count:     8
    .vgpr_spill_count: 0
    .wavefront_size: 32
  - .args:
      - .address_space:  global
        .offset:         0
        .size:           8
        .value_kind:     global_buffer
      - .address_space:  global
        .offset:         8
        .size:           8
        .value_kind:     global_buffer
    .group_segment_fixed_size: 3016
    .kernarg_segment_align: 8
    .kernarg_segment_size: 16
    .language:       OpenCL C
    .language_version:
      - 2
      - 0
    .max_flat_workgroup_size: 377
    .name:           _Z19shuffle_down_kernelILj377ELj128ElEvPT1_S1_
    .private_segment_fixed_size: 0
    .sgpr_count:     7
    .sgpr_spill_count: 0
    .symbol:         _Z19shuffle_down_kernelILj377ELj128ElEvPT1_S1_.kd
    .uniform_work_group_size: 1
    .uses_dynamic_stack: false
    .vgpr_count:     10
    .vgpr_spill_count: 0
    .wavefront_size: 32
  - .args:
      - .address_space:  global
        .offset:         0
        .size:           8
        .value_kind:     global_buffer
      - .address_space:  global
        .offset:         8
        .size:           8
        .value_kind:     global_buffer
    .group_segment_fixed_size: 2048
    .kernarg_segment_align: 8
    .kernarg_segment_size: 16
    .language:       OpenCL C
    .language_version:
      - 2
      - 0
    .max_flat_workgroup_size: 256
    .name:           _Z19shuffle_down_kernelILj256ELj128ElEvPT1_S1_
    .private_segment_fixed_size: 0
    .sgpr_count:     7
    .sgpr_spill_count: 0
    .symbol:         _Z19shuffle_down_kernelILj256ELj128ElEvPT1_S1_.kd
    .uniform_work_group_size: 1
    .uses_dynamic_stack: false
    .vgpr_count:     10
    .vgpr_spill_count: 0
    .wavefront_size: 32
  - .args:
      - .address_space:  global
        .offset:         0
        .size:           8
        .value_kind:     global_buffer
      - .address_space:  global
        .offset:         8
        .size:           8
        .value_kind:     global_buffer
    .group_segment_fixed_size: 512
    .kernarg_segment_align: 8
    .kernarg_segment_size: 16
    .language:       OpenCL C
    .language_version:
      - 2
      - 0
    .max_flat_workgroup_size: 64
    .name:           _Z19shuffle_down_kernelILj64ELj128ElEvPT1_S1_
    .private_segment_fixed_size: 0
    .sgpr_count:     7
    .sgpr_spill_count: 0
    .symbol:         _Z19shuffle_down_kernelILj64ELj128ElEvPT1_S1_.kd
    .uniform_work_group_size: 1
    .uses_dynamic_stack: false
    .vgpr_count:     10
    .vgpr_spill_count: 0
    .wavefront_size: 32
  - .args:
      - .address_space:  global
        .offset:         0
        .size:           8
        .value_kind:     global_buffer
      - .address_space:  global
        .offset:         8
        .size:           8
        .value_kind:     global_buffer
    .group_segment_fixed_size: 1508
    .kernarg_segment_align: 8
    .kernarg_segment_size: 16
    .language:       OpenCL C
    .language_version:
      - 2
      - 0
    .max_flat_workgroup_size: 377
    .name:           _Z19shuffle_down_kernelILj377ELj128EjEvPT1_S1_
    .private_segment_fixed_size: 0
    .sgpr_count:     7
    .sgpr_spill_count: 0
    .symbol:         _Z19shuffle_down_kernelILj377ELj128EjEvPT1_S1_.kd
    .uniform_work_group_size: 1
    .uses_dynamic_stack: false
    .vgpr_count:     8
    .vgpr_spill_count: 0
    .wavefront_size: 32
  - .args:
      - .address_space:  global
        .offset:         0
        .size:           8
        .value_kind:     global_buffer
      - .address_space:  global
        .offset:         8
        .size:           8
        .value_kind:     global_buffer
    .group_segment_fixed_size: 1024
    .kernarg_segment_align: 8
    .kernarg_segment_size: 16
    .language:       OpenCL C
    .language_version:
      - 2
      - 0
    .max_flat_workgroup_size: 256
    .name:           _Z19shuffle_down_kernelILj256ELj128EjEvPT1_S1_
    .private_segment_fixed_size: 0
    .sgpr_count:     7
    .sgpr_spill_count: 0
    .symbol:         _Z19shuffle_down_kernelILj256ELj128EjEvPT1_S1_.kd
    .uniform_work_group_size: 1
    .uses_dynamic_stack: false
    .vgpr_count:     8
    .vgpr_spill_count: 0
    .wavefront_size: 32
  - .args:
      - .address_space:  global
        .offset:         0
        .size:           8
        .value_kind:     global_buffer
      - .address_space:  global
        .offset:         8
        .size:           8
        .value_kind:     global_buffer
    .group_segment_fixed_size: 256
    .kernarg_segment_align: 8
    .kernarg_segment_size: 16
    .language:       OpenCL C
    .language_version:
      - 2
      - 0
    .max_flat_workgroup_size: 64
    .name:           _Z19shuffle_down_kernelILj64ELj128EjEvPT1_S1_
    .private_segment_fixed_size: 0
    .sgpr_count:     7
    .sgpr_spill_count: 0
    .symbol:         _Z19shuffle_down_kernelILj64ELj128EjEvPT1_S1_.kd
    .uniform_work_group_size: 1
    .uses_dynamic_stack: false
    .vgpr_count:     8
    .vgpr_spill_count: 0
    .wavefront_size: 32
  - .args:
      - .address_space:  global
        .offset:         0
        .size:           8
        .value_kind:     global_buffer
      - .address_space:  global
        .offset:         8
        .size:           8
        .value_kind:     global_buffer
    .group_segment_fixed_size: 1020
    .kernarg_segment_align: 8
    .kernarg_segment_size: 16
    .language:       OpenCL C
    .language_version:
      - 2
      - 0
    .max_flat_workgroup_size: 255
    .name:           _Z19shuffle_down_kernelILj255ELj128EiEvPT1_S1_
    .private_segment_fixed_size: 0
    .sgpr_count:     7
    .sgpr_spill_count: 0
    .symbol:         _Z19shuffle_down_kernelILj255ELj128EiEvPT1_S1_.kd
    .uniform_work_group_size: 1
    .uses_dynamic_stack: false
    .vgpr_count:     8
    .vgpr_spill_count: 0
    .wavefront_size: 32
  - .args:
      - .address_space:  global
        .offset:         0
        .size:           8
        .value_kind:     global_buffer
      - .address_space:  global
        .offset:         8
        .size:           8
        .value_kind:     global_buffer
    .group_segment_fixed_size: 648
    .kernarg_segment_align: 8
    .kernarg_segment_size: 16
    .language:       OpenCL C
    .language_version:
      - 2
      - 0
    .max_flat_workgroup_size: 162
    .name:           _Z19shuffle_down_kernelILj162ELj128EiEvPT1_S1_
    .private_segment_fixed_size: 0
    .sgpr_count:     7
    .sgpr_spill_count: 0
    .symbol:         _Z19shuffle_down_kernelILj162ELj128EiEvPT1_S1_.kd
    .uniform_work_group_size: 1
    .uses_dynamic_stack: false
    .vgpr_count:     8
    .vgpr_spill_count: 0
    .wavefront_size: 32
  - .args:
      - .address_space:  global
        .offset:         0
        .size:           8
        .value_kind:     global_buffer
      - .address_space:  global
        .offset:         8
        .size:           8
        .value_kind:     global_buffer
    .group_segment_fixed_size: 148
    .kernarg_segment_align: 8
    .kernarg_segment_size: 16
    .language:       OpenCL C
    .language_version:
      - 2
      - 0
    .max_flat_workgroup_size: 37
    .name:           _Z19shuffle_down_kernelILj37ELj128EiEvPT1_S1_
    .private_segment_fixed_size: 0
    .sgpr_count:     7
    .sgpr_spill_count: 0
    .symbol:         _Z19shuffle_down_kernelILj37ELj128EiEvPT1_S1_.kd
    .uniform_work_group_size: 1
    .uses_dynamic_stack: false
    .vgpr_count:     8
    .vgpr_spill_count: 0
    .wavefront_size: 32
  - .args:
      - .address_space:  global
        .offset:         0
        .size:           8
        .value_kind:     global_buffer
      - .address_space:  global
        .offset:         8
        .size:           8
        .value_kind:     global_buffer
    .group_segment_fixed_size: 260
    .kernarg_segment_align: 8
    .kernarg_segment_size: 16
    .language:       OpenCL C
    .language_version:
      - 2
      - 0
    .max_flat_workgroup_size: 65
    .name:           _Z19shuffle_down_kernelILj65ELj128EiEvPT1_S1_
    .private_segment_fixed_size: 0
    .sgpr_count:     7
    .sgpr_spill_count: 0
    .symbol:         _Z19shuffle_down_kernelILj65ELj128EiEvPT1_S1_.kd
    .uniform_work_group_size: 1
    .uses_dynamic_stack: false
    .vgpr_count:     8
    .vgpr_spill_count: 0
    .wavefront_size: 32
  - .args:
      - .address_space:  global
        .offset:         0
        .size:           8
        .value_kind:     global_buffer
      - .address_space:  global
        .offset:         8
        .size:           8
        .value_kind:     global_buffer
    .group_segment_fixed_size: 2048
    .kernarg_segment_align: 8
    .kernarg_segment_size: 16
    .language:       OpenCL C
    .language_version:
      - 2
      - 0
    .max_flat_workgroup_size: 512
    .name:           _Z19shuffle_down_kernelILj512ELj128EiEvPT1_S1_
    .private_segment_fixed_size: 0
    .sgpr_count:     7
    .sgpr_spill_count: 0
    .symbol:         _Z19shuffle_down_kernelILj512ELj128EiEvPT1_S1_.kd
    .uniform_work_group_size: 1
    .uses_dynamic_stack: false
    .vgpr_count:     8
    .vgpr_spill_count: 0
    .wavefront_size: 32
  - .args:
      - .address_space:  global
        .offset:         0
        .size:           8
        .value_kind:     global_buffer
      - .address_space:  global
        .offset:         8
        .size:           8
        .value_kind:     global_buffer
    .group_segment_fixed_size: 1024
    .kernarg_segment_align: 8
    .kernarg_segment_size: 16
    .language:       OpenCL C
    .language_version:
      - 2
      - 0
    .max_flat_workgroup_size: 256
    .name:           _Z19shuffle_down_kernelILj256ELj128EiEvPT1_S1_
    .private_segment_fixed_size: 0
    .sgpr_count:     7
    .sgpr_spill_count: 0
    .symbol:         _Z19shuffle_down_kernelILj256ELj128EiEvPT1_S1_.kd
    .uniform_work_group_size: 1
    .uses_dynamic_stack: false
    .vgpr_count:     8
    .vgpr_spill_count: 0
    .wavefront_size: 32
  - .args:
      - .address_space:  global
        .offset:         0
        .size:           8
        .value_kind:     global_buffer
      - .address_space:  global
        .offset:         8
        .size:           8
        .value_kind:     global_buffer
    .group_segment_fixed_size: 512
    .kernarg_segment_align: 8
    .kernarg_segment_size: 16
    .language:       OpenCL C
    .language_version:
      - 2
      - 0
    .max_flat_workgroup_size: 128
    .name:           _Z19shuffle_down_kernelILj128ELj128EiEvPT1_S1_
    .private_segment_fixed_size: 0
    .sgpr_count:     7
    .sgpr_spill_count: 0
    .symbol:         _Z19shuffle_down_kernelILj128ELj128EiEvPT1_S1_.kd
    .uniform_work_group_size: 1
    .uses_dynamic_stack: false
    .vgpr_count:     8
    .vgpr_spill_count: 0
    .wavefront_size: 32
  - .args:
      - .address_space:  global
        .offset:         0
        .size:           8
        .value_kind:     global_buffer
      - .address_space:  global
        .offset:         8
        .size:           8
        .value_kind:     global_buffer
    .group_segment_fixed_size: 256
    .kernarg_segment_align: 8
    .kernarg_segment_size: 16
    .language:       OpenCL C
    .language_version:
      - 2
      - 0
    .max_flat_workgroup_size: 64
    .name:           _Z19shuffle_down_kernelILj64ELj128EiEvPT1_S1_
    .private_segment_fixed_size: 0
    .sgpr_count:     7
    .sgpr_spill_count: 0
    .symbol:         _Z19shuffle_down_kernelILj64ELj128EiEvPT1_S1_.kd
    .uniform_work_group_size: 1
    .uses_dynamic_stack: false
    .vgpr_count:     8
    .vgpr_spill_count: 0
    .wavefront_size: 32
amdhsa.target:   amdgcn-amd-amdhsa--gfx1250
amdhsa.version:
  - 1
  - 2
...

	.end_amdgpu_metadata
